;; amdgpu-corpus repo=ROCm/rocFFT kind=compiled arch=gfx906 opt=O3
	.text
	.amdgcn_target "amdgcn-amd-amdhsa--gfx906"
	.amdhsa_code_object_version 6
	.protected	bluestein_single_back_len117_dim1_half_op_CI_CI ; -- Begin function bluestein_single_back_len117_dim1_half_op_CI_CI
	.globl	bluestein_single_back_len117_dim1_half_op_CI_CI
	.p2align	8
	.type	bluestein_single_back_len117_dim1_half_op_CI_CI,@function
bluestein_single_back_len117_dim1_half_op_CI_CI: ; @bluestein_single_back_len117_dim1_half_op_CI_CI
; %bb.0:
	s_load_dwordx4 s[0:3], s[4:5], 0x28
	v_mul_u32_u24_e32 v1, 0x13b2, v0
	v_lshrrev_b32_e32 v1, 16, v1
	v_lshl_add_u32 v8, s6, 2, v1
	v_mov_b32_e32 v9, 0
	s_waitcnt lgkmcnt(0)
	v_cmp_gt_u64_e32 vcc, s[0:1], v[8:9]
	s_and_saveexec_b64 s[0:1], vcc
	s_cbranch_execz .LBB0_15
; %bb.1:
	s_load_dwordx2 s[6:7], s[4:5], 0x0
	s_load_dwordx2 s[12:13], s[4:5], 0x38
	v_mul_lo_u16_e32 v2, 13, v1
	v_sub_u16_e32 v22, v0, v2
	v_and_b32_e32 v0, 3, v1
	v_mul_u32_u24_e32 v23, 0x75, v0
	v_cmp_gt_u16_e32 vcc, 9, v22
	v_lshlrev_b32_e32 v21, 2, v22
	v_lshlrev_b32_e32 v24, 2, v23
	s_and_saveexec_b64 s[14:15], vcc
	s_cbranch_execz .LBB0_3
; %bb.2:
	s_load_dwordx2 s[0:1], s[4:5], 0x18
	v_lshl_add_u32 v7, v22, 2, v24
	s_waitcnt lgkmcnt(0)
	s_load_dwordx4 s[8:11], s[0:1], 0x0
	s_waitcnt lgkmcnt(0)
	v_mad_u64_u32 v[0:1], s[0:1], s10, v8, 0
	v_mad_u64_u32 v[2:3], s[0:1], s8, v22, 0
	;; [unrolled: 1-line block ×4, first 2 shown]
	v_mov_b32_e32 v1, v4
	v_lshlrev_b64 v[0:1], 2, v[0:1]
	v_mov_b32_e32 v3, v5
	v_mov_b32_e32 v6, s3
	v_lshlrev_b64 v[2:3], 2, v[2:3]
	v_add_co_u32_e64 v0, s[0:1], s2, v0
	v_addc_co_u32_e64 v1, s[0:1], v6, v1, s[0:1]
	v_add_co_u32_e64 v0, s[0:1], v0, v2
	v_addc_co_u32_e64 v1, s[0:1], v1, v3, s[0:1]
	s_mul_i32 s0, s9, 36
	s_mul_hi_u32 s3, s8, 36
	s_mul_i32 s2, s8, 36
	s_add_i32 s3, s3, s0
	global_load_dword v2, v[0:1], off
	global_load_dword v3, v21, s[6:7]
	global_load_dword v4, v21, s[6:7] offset:36
	global_load_dword v5, v21, s[6:7] offset:72
	global_load_dword v6, v21, s[6:7] offset:108
	v_mov_b32_e32 v9, s3
	v_add_co_u32_e64 v0, s[0:1], s2, v0
	v_addc_co_u32_e64 v1, s[0:1], v1, v9, s[0:1]
	v_mov_b32_e32 v10, s3
	global_load_dword v9, v[0:1], off
	v_add_co_u32_e64 v0, s[0:1], s2, v0
	v_addc_co_u32_e64 v1, s[0:1], v1, v10, s[0:1]
	v_mov_b32_e32 v11, s3
	global_load_dword v10, v[0:1], off
	v_add_co_u32_e64 v0, s[0:1], s2, v0
	v_addc_co_u32_e64 v1, s[0:1], v1, v11, s[0:1]
	global_load_dword v11, v[0:1], off
	v_mov_b32_e32 v12, s3
	v_add_co_u32_e64 v0, s[0:1], s2, v0
	v_addc_co_u32_e64 v1, s[0:1], v1, v12, s[0:1]
	global_load_dword v12, v[0:1], off
	global_load_dword v13, v21, s[6:7] offset:144
	global_load_dword v14, v21, s[6:7] offset:180
	;; [unrolled: 1-line block ×4, first 2 shown]
	v_mov_b32_e32 v17, s3
	v_add_co_u32_e64 v0, s[0:1], s2, v0
	v_addc_co_u32_e64 v1, s[0:1], v1, v17, s[0:1]
	global_load_dword v17, v[0:1], off
	v_mov_b32_e32 v18, s3
	v_add_co_u32_e64 v0, s[0:1], s2, v0
	v_addc_co_u32_e64 v1, s[0:1], v1, v18, s[0:1]
	global_load_dword v18, v[0:1], off
	global_load_dword v19, v21, s[6:7] offset:288
	global_load_dword v20, v21, s[6:7] offset:324
	;; [unrolled: 1-line block ×3, first 2 shown]
	v_mov_b32_e32 v26, s3
	v_add_co_u32_e64 v0, s[0:1], s2, v0
	v_addc_co_u32_e64 v1, s[0:1], v1, v26, s[0:1]
	global_load_dword v26, v[0:1], off
	v_mov_b32_e32 v27, s3
	v_add_co_u32_e64 v0, s[0:1], s2, v0
	v_addc_co_u32_e64 v1, s[0:1], v1, v27, s[0:1]
	global_load_dword v27, v[0:1], off
	;; [unrolled: 4-line block ×5, first 2 shown]
	global_load_dword v33, v21, s[6:7] offset:396
	v_add_co_u32_e64 v0, s[0:1], s2, v0
	v_addc_co_u32_e64 v1, s[0:1], v1, v30, s[0:1]
	global_load_dword v30, v[0:1], off
	global_load_dword v34, v21, s[6:7] offset:432
	s_waitcnt vmcnt(25)
	v_lshrrev_b32_e32 v31, 16, v2
	s_waitcnt vmcnt(24)
	v_mul_f16_sdwa v0, v3, v2 dst_sel:DWORD dst_unused:UNUSED_PAD src0_sel:WORD_1 src1_sel:DWORD
	v_mul_f16_sdwa v1, v3, v31 dst_sel:DWORD dst_unused:UNUSED_PAD src0_sel:WORD_1 src1_sel:DWORD
	v_fma_f16 v0, v3, v31, -v0
	v_fma_f16 v1, v3, v2, v1
	v_pack_b32_f16 v0, v1, v0
	ds_write_b32 v7, v0
	s_waitcnt vmcnt(20)
	v_lshrrev_b32_e32 v2, 16, v9
	v_mul_f16_sdwa v3, v4, v9 dst_sel:DWORD dst_unused:UNUSED_PAD src0_sel:WORD_1 src1_sel:DWORD
	v_fma_f16 v3, v4, v2, -v3
	v_mul_f16_sdwa v2, v4, v2 dst_sel:DWORD dst_unused:UNUSED_PAD src0_sel:WORD_1 src1_sel:DWORD
	v_fma_f16 v2, v4, v9, v2
	v_pack_b32_f16 v2, v2, v3
	s_waitcnt vmcnt(19)
	v_lshrrev_b32_e32 v0, 16, v10
	v_mul_f16_sdwa v1, v5, v10 dst_sel:DWORD dst_unused:UNUSED_PAD src0_sel:WORD_1 src1_sel:DWORD
	v_fma_f16 v1, v5, v0, -v1
	v_mul_f16_sdwa v0, v5, v0 dst_sel:DWORD dst_unused:UNUSED_PAD src0_sel:WORD_1 src1_sel:DWORD
	v_fma_f16 v0, v5, v10, v0
	s_waitcnt vmcnt(18)
	v_lshrrev_b32_e32 v5, 16, v11
	v_mul_f16_sdwa v7, v6, v11 dst_sel:DWORD dst_unused:UNUSED_PAD src0_sel:WORD_1 src1_sel:DWORD
	v_mul_f16_sdwa v3, v6, v5 dst_sel:DWORD dst_unused:UNUSED_PAD src0_sel:WORD_1 src1_sel:DWORD
	v_fma_f16 v5, v6, v5, -v7
	s_waitcnt vmcnt(17)
	v_lshrrev_b32_e32 v7, 16, v12
	v_add_u32_e32 v4, v24, v21
	v_pack_b32_f16 v0, v0, v1
	s_waitcnt vmcnt(16)
	v_mul_f16_sdwa v1, v13, v12 dst_sel:DWORD dst_unused:UNUSED_PAD src0_sel:WORD_1 src1_sel:DWORD
	v_fma_f16 v3, v6, v11, v3
	v_mul_f16_sdwa v6, v13, v7 dst_sel:DWORD dst_unused:UNUSED_PAD src0_sel:WORD_1 src1_sel:DWORD
	v_fma_f16 v1, v13, v7, -v1
	ds_write2_b32 v4, v2, v0 offset0:9 offset1:18
	v_fma_f16 v2, v13, v12, v6
	v_pack_b32_f16 v0, v3, v5
	v_pack_b32_f16 v1, v2, v1
	ds_write2_b32 v4, v0, v1 offset0:27 offset1:36
	s_waitcnt vmcnt(12)
	v_lshrrev_b32_e32 v0, 16, v17
	v_mul_f16_sdwa v1, v14, v0 dst_sel:DWORD dst_unused:UNUSED_PAD src0_sel:WORD_1 src1_sel:DWORD
	v_mul_f16_sdwa v2, v14, v17 dst_sel:DWORD dst_unused:UNUSED_PAD src0_sel:WORD_1 src1_sel:DWORD
	v_fma_f16 v1, v14, v17, v1
	v_fma_f16 v0, v14, v0, -v2
	v_pack_b32_f16 v0, v1, v0
	s_waitcnt vmcnt(11)
	v_lshrrev_b32_e32 v1, 16, v18
	v_mul_f16_sdwa v2, v15, v1 dst_sel:DWORD dst_unused:UNUSED_PAD src0_sel:WORD_1 src1_sel:DWORD
	v_mul_f16_sdwa v3, v15, v18 dst_sel:DWORD dst_unused:UNUSED_PAD src0_sel:WORD_1 src1_sel:DWORD
	v_fma_f16 v2, v15, v18, v2
	v_fma_f16 v1, v15, v1, -v3
	v_pack_b32_f16 v1, v2, v1
	ds_write2_b32 v4, v0, v1 offset0:45 offset1:54
	s_waitcnt vmcnt(7)
	v_lshrrev_b32_e32 v0, 16, v26
	v_mul_f16_sdwa v1, v16, v0 dst_sel:DWORD dst_unused:UNUSED_PAD src0_sel:WORD_1 src1_sel:DWORD
	v_mul_f16_sdwa v2, v16, v26 dst_sel:DWORD dst_unused:UNUSED_PAD src0_sel:WORD_1 src1_sel:DWORD
	v_fma_f16 v1, v16, v26, v1
	v_fma_f16 v0, v16, v0, -v2
	v_pack_b32_f16 v0, v1, v0
	s_waitcnt vmcnt(6)
	v_lshrrev_b32_e32 v1, 16, v27
	v_mul_f16_sdwa v2, v19, v1 dst_sel:DWORD dst_unused:UNUSED_PAD src0_sel:WORD_1 src1_sel:DWORD
	v_mul_f16_sdwa v3, v19, v27 dst_sel:DWORD dst_unused:UNUSED_PAD src0_sel:WORD_1 src1_sel:DWORD
	v_fma_f16 v2, v19, v27, v2
	v_fma_f16 v1, v19, v1, -v3
	;; [unrolled: 15-line block ×3, first 2 shown]
	v_pack_b32_f16 v1, v2, v1
	ds_write2_b32 v4, v0, v1 offset0:81 offset1:90
	s_waitcnt vmcnt(3)
	v_lshrrev_b32_e32 v0, 16, v32
	s_waitcnt vmcnt(2)
	v_mul_f16_sdwa v1, v33, v0 dst_sel:DWORD dst_unused:UNUSED_PAD src0_sel:WORD_1 src1_sel:DWORD
	v_mul_f16_sdwa v2, v33, v32 dst_sel:DWORD dst_unused:UNUSED_PAD src0_sel:WORD_1 src1_sel:DWORD
	v_fma_f16 v1, v33, v32, v1
	v_fma_f16 v0, v33, v0, -v2
	v_pack_b32_f16 v0, v1, v0
	s_waitcnt vmcnt(1)
	v_lshrrev_b32_e32 v1, 16, v30
	s_waitcnt vmcnt(0)
	v_mul_f16_sdwa v2, v34, v1 dst_sel:DWORD dst_unused:UNUSED_PAD src0_sel:WORD_1 src1_sel:DWORD
	v_mul_f16_sdwa v3, v34, v30 dst_sel:DWORD dst_unused:UNUSED_PAD src0_sel:WORD_1 src1_sel:DWORD
	v_fma_f16 v2, v34, v30, v2
	v_fma_f16 v1, v34, v1, -v3
	v_pack_b32_f16 v1, v2, v1
	ds_write2_b32 v4, v0, v1 offset0:99 offset1:108
.LBB0_3:
	s_or_b64 exec, exec, s[14:15]
	s_load_dwordx2 s[2:3], s[4:5], 0x20
	s_load_dwordx2 s[0:1], s[4:5], 0x8
	v_mov_b32_e32 v0, 0
	s_waitcnt lgkmcnt(0)
	; wave barrier
	s_waitcnt lgkmcnt(0)
                                        ; implicit-def: $vgpr11
                                        ; implicit-def: $vgpr3
                                        ; implicit-def: $vgpr5
                                        ; implicit-def: $vgpr7
                                        ; implicit-def: $vgpr14
                                        ; implicit-def: $vgpr16
	s_and_saveexec_b64 s[4:5], vcc
	s_cbranch_execz .LBB0_5
; %bb.4:
	v_lshl_add_u32 v9, v23, 2, v21
	ds_read2_b32 v[0:1], v9 offset1:9
	ds_read2_b32 v[15:16], v9 offset0:18 offset1:27
	ds_read2_b32 v[13:14], v9 offset0:36 offset1:45
	;; [unrolled: 1-line block ×5, first 2 shown]
	ds_read_b32 v11, v9 offset:432
.LBB0_5:
	s_or_b64 exec, exec, s[4:5]
	s_waitcnt lgkmcnt(0)
	v_pk_add_f16 v18, v1, v11 neg_lo:[0,1] neg_hi:[0,1]
	s_mov_b32 s4, 0xb770
	v_pk_add_f16 v17, v11, v1
	s_movk_i32 s8, 0x3b15
	v_mul_f16_sdwa v31, v18, s4 dst_sel:DWORD dst_unused:UNUSED_PAD src0_sel:WORD_1 src1_sel:DWORD
	s_mov_b32 s10, 0xba95
	v_pk_add_f16 v20, v15, v3 neg_lo:[0,1] neg_hi:[0,1]
	v_fma_f16 v9, v17, s8, v31
	s_movk_i32 s9, 0x388b
	v_pk_add_f16 v19, v3, v15
	v_mul_f16_sdwa v37, v20, s10 dst_sel:DWORD dst_unused:UNUSED_PAD src0_sel:WORD_1 src1_sel:DWORD
	v_add_f16_e32 v9, v9, v0
	v_lshrrev_b32_e32 v49, 16, v17
	v_mul_f16_e32 v35, 0xba95, v18
	v_fma_f16 v10, v19, s9, v37
	v_add_f16_e32 v9, v10, v9
	v_fma_f16 v10, v49, s9, -v35
	s_mov_b32 s11, 0xb5ac
	v_lshrrev_b32_e32 v55, 16, v19
	v_mul_f16_e32 v40, 0xbb7b, v20
	s_mov_b32 s4, 0xbbf1
	v_add_f16_sdwa v10, v10, v0 dst_sel:DWORD dst_unused:UNUSED_PAD src0_sel:DWORD src1_sel:WORD_1
	v_fma_f16 v12, v55, s11, -v40
	s_movk_i32 s16, 0x2fb7
	v_mul_f16_sdwa v43, v18, s4 dst_sel:DWORD dst_unused:UNUSED_PAD src0_sel:WORD_1 src1_sel:DWORD
	s_mov_b32 s17, 0xb3a8
	v_add_f16_e32 v10, v12, v10
	v_fma_f16 v12, v17, s16, v43
	s_mov_b32 s14, 0xbbc4
	v_mul_f16_sdwa v45, v20, s17 dst_sel:DWORD dst_unused:UNUSED_PAD src0_sel:WORD_1 src1_sel:DWORD
	v_add_f16_e32 v12, v12, v0
	v_fma_f16 v25, v19, s14, v45
	v_mul_f16_e32 v46, 0xbbf1, v18
	v_add_f16_e32 v12, v25, v12
	v_fma_f16 v25, v49, s16, -v46
	v_mul_f16_e32 v47, 0xb3a8, v20
	s_mov_b32 s15, 0xbb7b
	v_add_f16_sdwa v25, v25, v0 dst_sel:DWORD dst_unused:UNUSED_PAD src0_sel:DWORD src1_sel:WORD_1
	v_fma_f16 v26, v55, s14, -v47
	v_mul_f16_sdwa v51, v18, s15 dst_sel:DWORD dst_unused:UNUSED_PAD src0_sel:WORD_1 src1_sel:DWORD
	s_movk_i32 s5, 0x394e
	v_add_f16_e32 v25, v26, v25
	v_fma_f16 v26, v17, s11, v51
	s_mov_b32 s18, 0xb9fd
	v_mul_f16_sdwa v53, v20, s5 dst_sel:DWORD dst_unused:UNUSED_PAD src0_sel:WORD_1 src1_sel:DWORD
	v_add_f16_e32 v26, v26, v0
	v_fma_f16 v27, v19, s18, v53
	v_mul_f16_e32 v58, 0xbb7b, v18
	v_add_f16_e32 v26, v27, v26
	v_fma_f16 v27, v49, s11, -v58
	v_mul_f16_e32 v59, 0x394e, v20
	v_pk_add_f16 v33, v16, v2 neg_lo:[0,1] neg_hi:[0,1]
	v_add_f16_sdwa v27, v27, v0 dst_sel:DWORD dst_unused:UNUSED_PAD src0_sel:DWORD src1_sel:WORD_1
	v_fma_f16 v28, v55, s18, -v59
	v_pk_add_f16 v32, v2, v16
	v_mul_f16_sdwa v42, v33, s4 dst_sel:DWORD dst_unused:UNUSED_PAD src0_sel:WORD_1 src1_sel:DWORD
	v_add_f16_e32 v27, v28, v27
	v_fma_f16 v28, v32, s16, v42
	v_lshrrev_b32_e32 v66, 16, v32
	v_mul_f16_e32 v48, 0xb3a8, v33
	s_movk_i32 s5, 0x3b7b
	v_add_f16_e32 v9, v28, v9
	v_fma_f16 v28, v66, s14, -v48
	v_mul_f16_sdwa v52, v33, s5 dst_sel:DWORD dst_unused:UNUSED_PAD src0_sel:WORD_1 src1_sel:DWORD
	v_add_f16_e32 v10, v28, v10
	v_fma_f16 v28, v32, s11, v52
	v_mul_f16_e32 v57, 0x3b7b, v33
	s_movk_i32 s19, 0x3770
	v_add_f16_e32 v12, v28, v12
	v_fma_f16 v28, v66, s11, -v57
	v_mul_f16_sdwa v61, v33, s19 dst_sel:DWORD dst_unused:UNUSED_PAD src0_sel:WORD_1 src1_sel:DWORD
	v_add_f16_e32 v25, v28, v25
	v_fma_f16 v28, v32, s8, v61
	v_mul_f16_e32 v65, 0x3770, v33
	v_pk_add_f16 v36, v13, v5 neg_lo:[0,1] neg_hi:[0,1]
	v_add_f16_e32 v26, v28, v26
	v_fma_f16 v28, v66, s8, -v65
	v_pk_add_f16 v34, v5, v13
	v_mul_f16_sdwa v50, v36, s15 dst_sel:DWORD dst_unused:UNUSED_PAD src0_sel:WORD_1 src1_sel:DWORD
	v_add_f16_e32 v27, v28, v27
	v_fma_f16 v28, v34, s11, v50
	v_lshrrev_b32_e32 v73, 16, v34
	v_mul_f16_e32 v54, 0x394e, v36
	v_add_f16_e32 v9, v28, v9
	v_fma_f16 v28, v73, s18, -v54
	v_mul_f16_sdwa v60, v36, s19 dst_sel:DWORD dst_unused:UNUSED_PAD src0_sel:WORD_1 src1_sel:DWORD
	v_add_f16_e32 v10, v28, v10
	v_fma_f16 v28, v34, s8, v60
	v_mul_f16_e32 v64, 0x3770, v36
	v_add_f16_e32 v12, v28, v12
	v_fma_f16 v28, v73, s8, -v64
	v_mul_f16_sdwa v68, v36, s4 dst_sel:DWORD dst_unused:UNUSED_PAD src0_sel:WORD_1 src1_sel:DWORD
	v_add_f16_e32 v25, v28, v25
	v_fma_f16 v28, v34, s16, v68
	v_mul_f16_e32 v71, 0xbbf1, v36
	s_mov_b32 s20, 0xb94e
	v_pk_add_f16 v39, v14, v4 neg_lo:[0,1] neg_hi:[0,1]
	v_add_f16_e32 v26, v28, v26
	v_fma_f16 v28, v73, s16, -v71
	v_pk_add_f16 v38, v4, v14
	v_mul_f16_sdwa v56, v39, s20 dst_sel:DWORD dst_unused:UNUSED_PAD src0_sel:WORD_1 src1_sel:DWORD
	v_add_f16_e32 v27, v28, v27
	v_fma_f16 v28, v38, s18, v56
	v_lshrrev_b32_e32 v79, 16, v38
	v_mul_f16_e32 v62, 0x3bf1, v39
	v_add_f16_e32 v9, v28, v9
	v_fma_f16 v28, v79, s16, -v62
	v_mul_f16_sdwa v67, v39, s10 dst_sel:DWORD dst_unused:UNUSED_PAD src0_sel:WORD_1 src1_sel:DWORD
	v_add_f16_e32 v28, v28, v10
	v_fma_f16 v10, v38, s9, v67
	v_mul_f16_e32 v69, 0xba95, v39
	s_movk_i32 s21, 0x33a8
	v_add_f16_e32 v10, v10, v12
	v_fma_f16 v12, v79, s9, -v69
	v_mul_f16_sdwa v75, v39, s21 dst_sel:DWORD dst_unused:UNUSED_PAD src0_sel:WORD_1 src1_sel:DWORD
	v_add_f16_e32 v12, v12, v25
	v_fma_f16 v25, v38, s14, v75
	v_mul_f16_e32 v80, 0x33a8, v39
	v_pk_add_f16 v44, v6, v7 neg_lo:[0,1] neg_hi:[0,1]
	s_mov_b32 s4, 0x3b15388b
	v_add_f16_e32 v25, v25, v26
	v_fma_f16 v26, v79, s14, -v80
	v_pk_add_f16 v41, v7, v6
	v_mul_f16_sdwa v63, v44, s17 dst_sel:DWORD dst_unused:UNUSED_PAD src0_sel:WORD_1 src1_sel:DWORD
	s_mov_b32 s5, 0xba95b770
	s_mov_b32 s22, 0x388bb5ac
	v_pk_mul_f16 v30, v17, s4
	v_add_f16_e32 v29, v26, v27
	v_fma_f16 v26, v41, s14, v63
	s_mov_b32 s23, 0xbb7bba95
	s_mov_b32 s24, 0x2fb7bbc4
	v_pk_fma_f16 v70, v18, s5, v30 op_sel:[0,0,1] op_sel_hi:[1,1,0]
	v_pk_mul_f16 v84, v19, s22
	v_add_f16_e32 v26, v26, v9
	s_mov_b32 s25, 0xb3a8bbf1
	s_mov_b32 s26, 0xb5acb9fd
	v_pk_fma_f16 v72, v20, s23, v84 op_sel:[0,0,1] op_sel_hi:[1,1,0]
	v_add_f16_sdwa v9, v70, v0 dst_sel:DWORD dst_unused:UNUSED_PAD src0_sel:WORD_1 src1_sel:DWORD
	v_pk_mul_f16 v85, v32, s24
	s_mov_b32 s27, 0x394ebb7b
	s_mov_b32 s28, 0xb9fd2fb7
	v_add_f16_sdwa v9, v72, v9 dst_sel:DWORD dst_unused:UNUSED_PAD src0_sel:WORD_1 src1_sel:DWORD
	v_pk_fma_f16 v74, v33, s25, v85 op_sel:[0,0,1] op_sel_hi:[1,1,0]
	v_pk_mul_f16 v86, v34, s26
	s_mov_b32 s29, 0x3bf1b94e
	s_mov_b32 s30, 0xbbc43b15
	v_add_f16_sdwa v9, v74, v9 dst_sel:DWORD dst_unused:UNUSED_PAD src0_sel:WORD_1 src1_sel:DWORD
	v_pk_fma_f16 v76, v36, s27, v86 op_sel:[0,0,1] op_sel_hi:[1,1,0]
	v_pk_mul_f16 v87, v38, s28
	s_mov_b32 s31, 0x3770b3a8
	v_add_f16_sdwa v9, v76, v9 dst_sel:DWORD dst_unused:UNUSED_PAD src0_sel:WORD_1 src1_sel:DWORD
	v_pk_fma_f16 v77, v39, s29, v87 op_sel:[0,0,1] op_sel_hi:[1,1,0]
	v_mul_f16_sdwa v82, v44, s20 dst_sel:DWORD dst_unused:UNUSED_PAD src0_sel:WORD_1 src1_sel:DWORD
	v_pk_mul_f16 v88, v41, s30
	v_add_f16_sdwa v27, v77, v9 dst_sel:DWORD dst_unused:UNUSED_PAD src0_sel:WORD_1 src1_sel:DWORD
	v_fma_f16 v9, v41, s18, v82
	v_pk_fma_f16 v78, v44, s31, v88 op_sel:[0,0,1] op_sel_hi:[1,1,0]
	v_lshrrev_b32_e32 v91, 16, v41
	v_mul_f16_e32 v81, 0x3770, v44
	v_add_f16_e32 v9, v9, v10
	v_add_f16_sdwa v10, v78, v27 dst_sel:DWORD dst_unused:UNUSED_PAD src0_sel:WORD_1 src1_sel:DWORD
	v_fma_f16 v27, v91, s8, -v81
	v_mul_f16_e32 v89, 0xb94e, v44
	v_add_f16_e32 v27, v27, v28
	v_fma_f16 v28, v91, s18, -v89
	v_mul_f16_e32 v90, 0x3a95, v44
	v_add_f16_e32 v28, v28, v12
	v_fma_f16 v12, v91, s9, -v90
	v_pk_fma_f16 v83, v18, s5, v30 op_sel:[0,0,1] op_sel_hi:[1,1,0] neg_lo:[1,0,0] neg_hi:[1,0,0]
	v_add_f16_e32 v29, v12, v29
	v_pk_fma_f16 v84, v20, s23, v84 op_sel:[0,0,1] op_sel_hi:[1,1,0] neg_lo:[1,0,0] neg_hi:[1,0,0]
	v_add_f16_sdwa v12, v83, v0 dst_sel:DWORD dst_unused:UNUSED_PAD src0_sel:DWORD src1_sel:WORD_1
	v_pk_fma_f16 v85, v33, s25, v85 op_sel:[0,0,1] op_sel_hi:[1,1,0] neg_lo:[1,0,0] neg_hi:[1,0,0]
	v_add_f16_e32 v12, v84, v12
	v_pk_fma_f16 v86, v36, s27, v86 op_sel:[0,0,1] op_sel_hi:[1,1,0] neg_lo:[1,0,0] neg_hi:[1,0,0]
	v_add_f16_e32 v12, v85, v12
	;; [unrolled: 2-line block ×3, first 2 shown]
	s_movk_i32 s23, 0x3a95
	v_pk_fma_f16 v88, v44, s31, v88 op_sel:[0,0,1] op_sel_hi:[1,1,0] neg_lo:[1,0,0] neg_hi:[1,0,0]
	v_add_f16_e32 v12, v87, v12
	v_mul_f16_sdwa v92, v44, s23 dst_sel:DWORD dst_unused:UNUSED_PAD src0_sel:WORD_1 src1_sel:DWORD
	v_add_f16_e32 v30, v88, v12
	v_fma_f16 v12, v41, s9, v92
	s_movk_i32 s22, 0x3bf1
	v_add_f16_e32 v12, v12, v25
	v_mul_lo_u16_e32 v25, 13, v22
	s_waitcnt lgkmcnt(0)
	; wave barrier
	s_and_saveexec_b64 s[4:5], vcc
	s_cbranch_execz .LBB0_7
; %bb.6:
	v_alignbit_b32 v93, v0, v0, 16
	v_pk_add_f16 v1, v1, v93 op_sel:[0,1] op_sel_hi:[1,0]
	v_mul_f16_e32 v95, 0x388b, v49
	v_pk_add_f16 v1, v15, v1
	v_mul_f16_e32 v96, 0x2fb7, v17
	v_mul_f16_e32 v100, 0xb5ac, v55
	v_add_f16_e32 v35, v35, v95
	v_pk_add_f16 v1, v16, v1
	v_mul_f16_e32 v97, 0x2fb7, v49
	v_mul_f16_e32 v101, 0xbbc4, v19
	;; [unrolled: 1-line block ×3, first 2 shown]
	v_sub_f16_e32 v43, v96, v43
	v_add_f16_sdwa v35, v35, v0 dst_sel:DWORD dst_unused:UNUSED_PAD src0_sel:DWORD src1_sel:WORD_1
	v_add_f16_e32 v40, v40, v100
	v_pk_add_f16 v1, v13, v1
	v_mul_f16_e32 v102, 0xbbc4, v55
	v_mul_f16_e32 v106, 0xb5ac, v32
	;; [unrolled: 1-line block ×3, first 2 shown]
	v_add_f16_e32 v46, v46, v97
	v_add_f16_e32 v43, v43, v0
	v_sub_f16_e32 v45, v101, v45
	v_add_f16_e32 v35, v40, v35
	v_add_f16_e32 v40, v48, v105
	v_pk_add_f16 v1, v14, v1
	v_mul_f16_e32 v107, 0xb5ac, v66
	v_mul_f16_e32 v111, 0x3b15, v34
	;; [unrolled: 1-line block ×3, first 2 shown]
	v_add_f16_sdwa v46, v46, v0 dst_sel:DWORD dst_unused:UNUSED_PAD src0_sel:DWORD src1_sel:WORD_1
	v_add_f16_e32 v47, v47, v102
	v_add_f16_e32 v43, v45, v43
	v_sub_f16_e32 v45, v106, v52
	v_add_f16_e32 v35, v40, v35
	v_add_f16_e32 v40, v54, v110
	v_pk_add_f16 v1, v6, v1
	v_mul_f16_e32 v98, 0xb5ac, v17
	v_mul_f16_e32 v112, 0x3b15, v73
	;; [unrolled: 1-line block ×4, first 2 shown]
	v_add_f16_e32 v46, v47, v46
	v_add_f16_e32 v47, v57, v107
	;; [unrolled: 1-line block ×3, first 2 shown]
	v_sub_f16_e32 v45, v111, v60
	v_add_f16_e32 v35, v40, v35
	v_add_f16_e32 v40, v62, v115
	v_pk_add_f16 v1, v7, v1
	v_mul_f16_e32 v94, 0x3b15, v17
	v_mul_f16_e32 v49, 0xb5ac, v49
	;; [unrolled: 1-line block ×5, first 2 shown]
	v_sub_f16_e32 v51, v98, v51
	v_add_f16_e32 v46, v47, v46
	v_add_f16_e32 v47, v64, v112
	;; [unrolled: 1-line block ×3, first 2 shown]
	v_sub_f16_e32 v45, v116, v67
	v_add_f16_e32 v35, v40, v35
	v_add_f16_e32 v40, v81, v120
	s_mov_b32 s24, 0xffff
	v_pk_add_f16 v1, v4, v1
	v_mul_f16_e32 v99, 0x388b, v19
	v_mul_f16_e32 v108, 0x3b15, v32
	;; [unrolled: 1-line block ×3, first 2 shown]
	v_add_f16_e32 v49, v58, v49
	v_add_f16_e32 v51, v51, v0
	v_sub_f16_e32 v53, v103, v53
	v_add_f16_e32 v46, v47, v46
	v_add_f16_e32 v47, v69, v117
	v_add_f16_e32 v43, v45, v43
	v_sub_f16_e32 v45, v121, v82
	v_add_f16_e32 v35, v40, v35
	v_bfi_b32 v40, s24, v70, v83
	v_sub_f16_e32 v31, v94, v31
	v_pk_add_f16 v1, v5, v1
	v_mul_f16_e32 v55, 0xb9fd, v55
	v_mul_f16_e32 v104, 0x2fb7, v32
	;; [unrolled: 1-line block ×3, first 2 shown]
	v_add_f16_sdwa v49, v49, v0 dst_sel:DWORD dst_unused:UNUSED_PAD src0_sel:DWORD src1_sel:WORD_1
	v_add_f16_e32 v51, v53, v51
	v_sub_f16_e32 v53, v108, v61
	v_add_f16_e32 v46, v47, v46
	v_add_f16_e32 v47, v89, v122
	;; [unrolled: 1-line block ×3, first 2 shown]
	v_bfi_b32 v45, s24, v72, v84
	v_add_f16_e32 v0, v31, v0
	v_sub_f16_e32 v31, v99, v37
	v_pk_add_f16 v1, v2, v1
	v_pk_add_f16 v2, v40, v93
	v_mul_f16_e32 v66, 0x3b15, v66
	v_mul_f16_e32 v109, 0xb5ac, v34
	;; [unrolled: 1-line block ×3, first 2 shown]
	v_add_f16_e32 v55, v59, v55
	v_add_f16_e32 v51, v53, v51
	v_sub_f16_e32 v53, v113, v68
	v_add_f16_e32 v46, v47, v46
	v_bfi_b32 v47, s24, v74, v85
	v_add_f16_e32 v0, v31, v0
	v_sub_f16_e32 v31, v104, v42
	v_pk_add_f16 v2, v45, v2
	v_mul_f16_e32 v73, 0x2fb7, v73
	v_mul_f16_e32 v114, 0xb9fd, v38
	;; [unrolled: 1-line block ×3, first 2 shown]
	v_add_f16_e32 v49, v55, v49
	v_add_f16_e32 v55, v65, v66
	;; [unrolled: 1-line block ×3, first 2 shown]
	v_sub_f16_e32 v53, v118, v75
	v_bfi_b32 v48, s24, v76, v86
	v_add_f16_e32 v0, v31, v0
	v_sub_f16_e32 v31, v109, v50
	v_pk_add_f16 v2, v47, v2
	v_mul_f16_e32 v79, 0xbbc4, v79
	v_mul_f16_e32 v119, 0xbbc4, v41
	v_add_f16_e32 v49, v55, v49
	v_add_f16_e32 v55, v71, v73
	;; [unrolled: 1-line block ×3, first 2 shown]
	v_sub_f16_e32 v53, v123, v92
	v_bfi_b32 v52, s24, v77, v87
	v_add_f16_e32 v0, v31, v0
	v_sub_f16_e32 v31, v114, v56
	v_pk_add_f16 v2, v48, v2
	v_mul_f16_e32 v91, 0x388b, v91
	v_add_f16_e32 v49, v55, v49
	v_add_f16_e32 v55, v80, v79
	;; [unrolled: 1-line block ×3, first 2 shown]
	v_bfi_b32 v53, s24, v78, v88
	v_add_f16_e32 v0, v31, v0
	v_sub_f16_e32 v31, v119, v63
	v_pk_add_f16 v2, v52, v2
	v_add_f16_e32 v49, v55, v49
	v_add_f16_e32 v55, v90, v91
	;; [unrolled: 1-line block ×3, first 2 shown]
	v_pk_add_f16 v2, v53, v2
	v_add_f16_e32 v49, v55, v49
	v_add_lshl_u32 v31, v23, v25, 2
	v_pk_add_f16 v1, v3, v1
	v_alignbit_b32 v3, v35, v2, 16
	v_pack_b32_f16 v0, v0, v2
	ds_write2_b32 v31, v0, v3 offset0:1 offset1:2
	v_pack_b32_f16 v0, v51, v49
	v_pack_b32_f16 v2, v43, v46
	ds_write2_b32 v31, v2, v0 offset0:3 offset1:4
	v_pk_mul_f16 v0, v17, s14 op_sel_hi:[1,0]
	v_pk_fma_f16 v2, v18, s17, v0 op_sel:[0,0,1] op_sel_hi:[1,0,0] neg_lo:[1,0,0] neg_hi:[1,0,0]
	v_pk_mul_f16 v3, v19, s8 op_sel_hi:[1,0]
	v_pk_add_f16 v2, v2, v93
	v_pk_fma_f16 v4, v20, s19, v3 op_sel:[0,0,1] op_sel_hi:[1,0,0] neg_lo:[1,0,0] neg_hi:[1,0,0]
	v_pk_add_f16 v2, v4, v2
	v_pk_mul_f16 v4, v32, s18 op_sel_hi:[1,0]
	v_pk_fma_f16 v5, v33, s20, v4 op_sel:[0,0,1] op_sel_hi:[1,0,0] neg_lo:[1,0,0] neg_hi:[1,0,0]
	v_pk_add_f16 v2, v5, v2
	v_pk_mul_f16 v5, v34, s9 op_sel_hi:[1,0]
	v_pk_fma_f16 v0, v18, s17, v0 op_sel:[0,0,1] op_sel_hi:[1,0,0]
	v_pk_fma_f16 v6, v36, s23, v5 op_sel:[0,0,1] op_sel_hi:[1,0,0] neg_lo:[1,0,0] neg_hi:[1,0,0]
	v_pk_add_f16 v0, v0, v93
	v_pk_fma_f16 v3, v20, s19, v3 op_sel:[0,0,1] op_sel_hi:[1,0,0]
	v_pk_add_f16 v2, v6, v2
	v_pk_mul_f16 v6, v38, s11 op_sel_hi:[1,0]
	v_pk_add_f16 v0, v3, v0
	v_pk_fma_f16 v3, v33, s20, v4 op_sel:[0,0,1] op_sel_hi:[1,0,0]
	v_pk_fma_f16 v7, v39, s15, v6 op_sel:[0,0,1] op_sel_hi:[1,0,0] neg_lo:[1,0,0] neg_hi:[1,0,0]
	v_pk_add_f16 v0, v3, v0
	v_pk_fma_f16 v3, v36, s23, v5 op_sel:[0,0,1] op_sel_hi:[1,0,0]
	v_pk_add_f16 v2, v7, v2
	v_pk_mul_f16 v7, v41, s16 op_sel_hi:[1,0]
	v_pk_add_f16 v0, v3, v0
	v_pk_fma_f16 v3, v39, s15, v6 op_sel:[0,0,1] op_sel_hi:[1,0,0]
	v_pk_add_f16 v0, v3, v0
	v_pk_fma_f16 v3, v44, s22, v7 op_sel:[0,0,1] op_sel_hi:[1,0,0]
	v_pk_add_f16 v0, v3, v0
	v_pk_mul_f16 v3, v18, s20 op_sel_hi:[1,0]
	v_pk_fma_f16 v4, v17, s18, v3 op_sel:[0,0,1] op_sel_hi:[1,0,0]
	v_pk_fma_f16 v3, v17, s18, v3 op_sel:[0,0,1] op_sel_hi:[1,0,0] neg_lo:[0,0,1] neg_hi:[0,0,1]
	v_pk_mul_f16 v6, v20, s22 op_sel_hi:[1,0]
	v_pk_add_f16 v1, v11, v1
	v_pk_fma_f16 v11, v44, s22, v7 op_sel:[0,0,1] op_sel_hi:[1,0,0] neg_lo:[1,0,0] neg_hi:[1,0,0]
	v_bfi_b32 v5, s24, v4, v3
	v_pk_fma_f16 v7, v19, s16, v6 op_sel:[0,0,1] op_sel_hi:[1,0,0]
	v_pk_fma_f16 v6, v19, s16, v6 op_sel:[0,0,1] op_sel_hi:[1,0,0] neg_lo:[0,0,1] neg_hi:[0,0,1]
	v_pk_add_f16 v2, v11, v2
	v_pk_add_f16 v5, v5, v93 op_sel:[0,1] op_sel_hi:[1,0]
	v_bfi_b32 v11, s24, v7, v6
	v_pk_add_f16 v5, v11, v5
	v_pk_mul_f16 v11, v33, s10 op_sel_hi:[1,0]
	v_pk_fma_f16 v13, v32, s9, v11 op_sel:[0,0,1] op_sel_hi:[1,0,0]
	v_pk_fma_f16 v11, v32, s9, v11 op_sel:[0,0,1] op_sel_hi:[1,0,0] neg_lo:[0,0,1] neg_hi:[0,0,1]
	v_bfi_b32 v14, s24, v13, v11
	v_pk_add_f16 v5, v14, v5
	v_pk_mul_f16 v14, v36, s21 op_sel_hi:[1,0]
	v_pk_fma_f16 v15, v34, s14, v14 op_sel:[0,0,1] op_sel_hi:[1,0,0]
	v_pk_fma_f16 v14, v34, s14, v14 op_sel:[0,0,1] op_sel_hi:[1,0,0] neg_lo:[0,0,1] neg_hi:[0,0,1]
	v_bfi_b32 v16, s24, v15, v14
	v_pk_add_f16 v5, v16, v5
	v_pk_mul_f16 v16, v39, s19 op_sel_hi:[1,0]
	v_alignbit_b32 v4, s0, v4, 16
	v_pk_fma_f16 v17, v38, s8, v16 op_sel:[0,0,1] op_sel_hi:[1,0,0]
	v_pk_fma_f16 v16, v38, s8, v16 op_sel:[0,0,1] op_sel_hi:[1,0,0] neg_lo:[0,0,1] neg_hi:[0,0,1]
	v_pk_add_f16 v4, v4, v93
	v_alignbit_b32 v7, s0, v7, 16
	v_bfi_b32 v18, s24, v17, v16
	v_pk_add_f16 v4, v7, v4
	v_alignbit_b32 v7, s0, v13, 16
	v_pk_add_f16 v5, v18, v5
	v_pk_mul_f16 v18, v44, s15 op_sel_hi:[1,0]
	v_pk_add_f16 v4, v7, v4
	v_alignbit_b32 v7, s0, v15, 16
	v_pk_fma_f16 v19, v41, s11, v18 op_sel:[0,0,1] op_sel_hi:[1,0,0]
	v_pk_add_f16 v4, v7, v4
	v_alignbit_b32 v7, s0, v17, 16
	v_pk_add_f16 v4, v7, v4
	v_alignbit_b32 v7, s0, v19, 16
	;; [unrolled: 2-line block ×3, first 2 shown]
	v_pk_add_f16 v3, v3, v7
	v_pk_add_f16 v3, v6, v3
	;; [unrolled: 1-line block ×4, first 2 shown]
	v_pk_fma_f16 v18, v41, s11, v18 op_sel:[0,0,1] op_sel_hi:[1,0,0] neg_lo:[0,0,1] neg_hi:[0,0,1]
	v_pk_add_f16 v3, v16, v3
	v_pk_add_f16 v3, v18, v3
	v_pack_b32_f16 v3, v3, v4
	v_bfi_b32 v20, s24, v19, v18
	ds_write2_b32 v31, v1, v3 offset1:5
	v_alignbit_b32 v1, v2, v0, 16
	v_alignbit_b32 v0, v0, v2, 16
	s_mov_b32 s8, 0x5040100
	v_pk_add_f16 v5, v20, v5
	ds_write2_b32 v31, v0, v1 offset0:6 offset1:7
	v_perm_b32 v0, v29, v12, s8
	ds_write2_b32 v31, v5, v0 offset0:8 offset1:9
	v_perm_b32 v0, v27, v10, s8
	v_perm_b32 v1, v28, v9, s8
	ds_write2_b32 v31, v1, v0 offset0:10 offset1:11
	v_perm_b32 v0, v30, v26, s8
	ds_write_b32 v31, v0 offset:48
.LBB0_7:
	s_or_b64 exec, exec, s[4:5]
	v_lshlrev_b32_e32 v11, 5, v22
	s_load_dwordx4 s[8:11], s[2:3], 0x0
	s_waitcnt lgkmcnt(0)
	; wave barrier
	s_waitcnt lgkmcnt(0)
	global_load_dwordx4 v[0:3], v11, s[0:1]
	global_load_dwordx4 v[4:7], v11, s[0:1] offset:16
	v_add_lshl_u32 v32, v23, v22, 2
	ds_read2_b32 v[19:20], v32 offset1:13
	ds_read2_b32 v[13:14], v32 offset0:26 offset1:39
	ds_read2_b32 v[15:16], v32 offset0:52 offset1:65
	;; [unrolled: 1-line block ×3, first 2 shown]
	ds_read_b32 v11, v32 offset:416
	s_waitcnt lgkmcnt(4)
	v_lshrrev_b32_e32 v33, 16, v20
	s_waitcnt lgkmcnt(3)
	v_lshrrev_b32_e32 v34, 16, v13
	v_lshrrev_b32_e32 v35, 16, v14
	s_waitcnt lgkmcnt(2)
	v_lshrrev_b32_e32 v36, 16, v15
	s_waitcnt lgkmcnt(0)
	v_lshrrev_b32_e32 v40, 16, v11
	v_lshrrev_b32_e32 v37, 16, v16
	;; [unrolled: 1-line block ×4, first 2 shown]
	s_movk_i32 s3, 0x3a21
	v_lshrrev_b32_e32 v31, 16, v19
	s_movk_i32 s0, 0x3be1
	s_movk_i32 s4, 0x318f
	;; [unrolled: 1-line block ×4, first 2 shown]
	s_mov_b32 s5, 0xbb84
	s_mov_b32 s14, 0xb924
	s_waitcnt vmcnt(1)
	v_mul_f16_sdwa v41, v33, v0 dst_sel:DWORD dst_unused:UNUSED_PAD src0_sel:DWORD src1_sel:WORD_1
	v_mul_f16_sdwa v42, v20, v0 dst_sel:DWORD dst_unused:UNUSED_PAD src0_sel:DWORD src1_sel:WORD_1
	;; [unrolled: 1-line block ×3, first 2 shown]
	s_waitcnt vmcnt(0)
	v_mul_f16_sdwa v55, v40, v7 dst_sel:DWORD dst_unused:UNUSED_PAD src0_sel:DWORD src1_sel:WORD_1
	v_mul_f16_sdwa v56, v11, v7 dst_sel:DWORD dst_unused:UNUSED_PAD src0_sel:DWORD src1_sel:WORD_1
	;; [unrolled: 1-line block ×12, first 2 shown]
	v_fma_f16 v20, v20, v0, -v41
	v_fma_f16 v33, v33, v0, v42
	v_fma_f16 v42, v36, v3, v48
	v_fma_f16 v11, v11, v7, -v55
	v_fma_f16 v36, v40, v7, v56
	v_mul_f16_sdwa v50, v16, v4 dst_sel:DWORD dst_unused:UNUSED_PAD src0_sel:DWORD src1_sel:WORD_1
	v_fma_f16 v13, v13, v1, -v43
	v_fma_f16 v34, v34, v1, v44
	v_fma_f16 v14, v14, v2, -v45
	v_fma_f16 v35, v35, v2, v46
	v_fma_f16 v41, v15, v3, -v47
	v_fma_f16 v43, v16, v4, -v49
	;; [unrolled: 1-line block ×3, first 2 shown]
	v_fma_f16 v16, v38, v5, v52
	v_fma_f16 v17, v18, v6, -v53
	v_fma_f16 v18, v39, v6, v54
	v_add_f16_e32 v40, v20, v11
	v_add_f16_e32 v45, v33, v36
	v_sub_f16_e32 v20, v20, v11
	v_sub_f16_e32 v33, v33, v36
	v_fma_f16 v44, v37, v4, v50
	v_add_f16_e32 v46, v13, v17
	v_add_f16_e32 v47, v34, v18
	;; [unrolled: 1-line block ×4, first 2 shown]
	v_sub_f16_e32 v13, v13, v17
	v_sub_f16_e32 v50, v34, v18
	;; [unrolled: 1-line block ×4, first 2 shown]
	v_mul_f16_e32 v11, 0x3924, v20
	v_mul_f16_e32 v14, 0x3924, v33
	v_fma_f16 v15, v40, s3, v19
	v_fma_f16 v16, v45, s3, v31
	;; [unrolled: 1-line block ×6, first 2 shown]
	v_sub_f16_e32 v53, v41, v43
	v_sub_f16_e32 v54, v42, v44
	v_add_f16_e32 v55, v41, v43
	v_add_f16_e32 v56, v42, v44
	v_fma_f16 v11, v51, s1, v11
	v_fma_f16 v14, v52, s1, v14
	v_fma_f16 v15, v48, -0.5, v15
	v_fma_f16 v16, v49, -0.5, v16
	v_fma_f16 v17, v53, s2, v11
	v_fma_f16 v11, v54, s2, v14
	;; [unrolled: 1-line block ×4, first 2 shown]
	v_sub_f16_e32 v34, v15, v17
	v_mul_f16_e32 v15, 0xb924, v53
	v_mul_f16_e32 v16, 0xb924, v54
	v_fma_f16 v15, v20, s0, v15
	v_fma_f16 v16, v33, s0, v16
	s_mov_b32 s0, 0xbaee
	v_fma_f16 v15, v51, s0, v15
	v_fma_f16 v36, v17, 2.0, v34
	v_fma_f16 v17, v13, s2, v15
	v_fma_f16 v15, v55, s3, v19
	v_fma_f16 v18, v56, s3, v31
	v_fma_f16 v15, v40, s4, v15
	v_fma_f16 v18, v45, s4, v18
	v_fma_f16 v16, v52, s0, v16
	v_fma_f16 v15, v48, -0.5, v15
	v_fma_f16 v18, v49, -0.5, v18
	v_fma_f16 v16, v50, s2, v16
	v_fma_f16 v15, v46, s5, v15
	v_fma_f16 v18, v47, s5, v18
	v_add_f16_e32 v15, v16, v15
	v_sub_f16_e32 v35, v18, v17
	v_fma_f16 v18, v16, -2.0, v15
	v_fma_f16 v37, v17, 2.0, v35
	v_add_f16_e32 v16, v53, v20
	v_add_f16_e32 v17, v54, v33
	v_mul_f16_e32 v53, 0x3be1, v53
	v_mul_f16_e32 v54, 0x3be1, v54
	v_sub_f16_e32 v38, v16, v13
	v_sub_f16_e32 v16, v17, v50
	v_fma_f16 v13, v13, s14, -v53
	v_fma_f16 v50, v50, s14, -v54
	v_add_f16_e32 v59, v46, v40
	v_add_f16_e32 v60, v47, v45
	v_fma_f16 v13, v51, s1, v13
	v_fma_f16 v50, v52, s1, v50
	;; [unrolled: 1-line block ×4, first 2 shown]
	v_add_f16_e32 v13, v48, v59
	v_add_f16_e32 v33, v49, v60
	;; [unrolled: 1-line block ×10, first 2 shown]
	v_fma_f16 v19, v46, s3, v19
	v_fma_f16 v31, v47, s3, v31
	;; [unrolled: 1-line block ×4, first 2 shown]
	v_add_f16_e32 v61, v55, v59
	v_add_f16_e32 v62, v56, v60
	v_fma_f16 v19, v48, -0.5, v19
	v_fma_f16 v31, v49, -0.5, v31
	v_add_f16_e32 v14, v11, v14
	v_fma_f16 v57, v61, -0.5, v57
	v_fma_f16 v58, v62, -0.5, v58
	v_fma_f16 v19, v40, s5, v19
	v_fma_f16 v31, v45, s5, v31
	v_mul_f16_e32 v39, 0x3aee, v38
	v_mul_f16_e32 v17, 0x3aee, v16
	v_fma_f16 v16, v16, s1, v57
	v_fma_f16 v38, v38, s0, v58
	v_add_f16_e32 v19, v20, v19
	v_sub_f16_e32 v40, v31, v51
	v_lshl_add_u32 v31, v22, 2, v24
	v_pack_b32_f16 v42, v13, v33
	v_pack_b32_f16 v43, v14, v34
	v_fma_f16 v20, v20, -2.0, v19
	v_fma_f16 v41, v51, 2.0, v40
	ds_write2_b32 v31, v42, v43 offset1:13
	v_pack_b32_f16 v42, v15, v35
	v_pack_b32_f16 v43, v16, v38
	v_fma_f16 v17, v17, -2.0, v16
	v_fma_f16 v39, v39, 2.0, v38
	ds_write2_b32 v31, v42, v43 offset0:26 offset1:39
	v_pack_b32_f16 v42, v19, v40
	v_pack_b32_f16 v43, v20, v41
	v_fma_f16 v11, v11, -2.0, v14
	ds_write2_b32 v31, v42, v43 offset0:52 offset1:65
	v_pack_b32_f16 v42, v17, v39
	v_pack_b32_f16 v43, v18, v37
	ds_write2_b32 v31, v42, v43 offset0:78 offset1:91
	v_pack_b32_f16 v42, v11, v36
	ds_write_b32 v31, v42 offset:416
	s_waitcnt lgkmcnt(0)
	; wave barrier
	s_waitcnt lgkmcnt(0)
	s_and_saveexec_b64 s[0:1], vcc
	s_cbranch_execz .LBB0_9
; %bb.8:
	global_load_dword v54, v21, s[6:7] offset:468
	s_add_u32 s2, s6, 0x1d4
	s_addc_u32 s3, s7, 0
	global_load_dword v55, v21, s[2:3] offset:36
	global_load_dword v56, v21, s[2:3] offset:72
	;; [unrolled: 1-line block ×11, first 2 shown]
	ds_read2_b32 v[42:43], v31 offset1:9
	ds_read2_b32 v[44:45], v31 offset0:18 offset1:27
	ds_read2_b32 v[46:47], v31 offset0:36 offset1:45
	;; [unrolled: 1-line block ×5, first 2 shown]
	global_load_dword v66, v21, s[2:3] offset:432
	s_waitcnt lgkmcnt(5)
	v_lshrrev_b32_e32 v67, 16, v42
	v_lshrrev_b32_e32 v68, 16, v43
	s_waitcnt lgkmcnt(4)
	v_lshrrev_b32_e32 v69, 16, v44
	v_lshrrev_b32_e32 v70, 16, v45
	s_waitcnt lgkmcnt(3)
	v_lshrrev_b32_e32 v71, 16, v46
	v_lshrrev_b32_e32 v72, 16, v47
	s_waitcnt lgkmcnt(2)
	v_lshrrev_b32_e32 v73, 16, v48
	v_lshrrev_b32_e32 v74, 16, v49
	s_waitcnt lgkmcnt(1)
	v_lshrrev_b32_e32 v75, 16, v50
	v_lshrrev_b32_e32 v76, 16, v51
	s_waitcnt vmcnt(9)
	v_mul_f16_sdwa v79, v70, v57 dst_sel:DWORD dst_unused:UNUSED_PAD src0_sel:DWORD src1_sel:WORD_1
	v_mul_f16_sdwa v80, v45, v57 dst_sel:DWORD dst_unused:UNUSED_PAD src0_sel:DWORD src1_sel:WORD_1
	s_waitcnt vmcnt(8)
	v_mul_f16_sdwa v81, v71, v58 dst_sel:DWORD dst_unused:UNUSED_PAD src0_sel:DWORD src1_sel:WORD_1
	v_mul_f16_sdwa v82, v46, v58 dst_sel:DWORD dst_unused:UNUSED_PAD src0_sel:DWORD src1_sel:WORD_1
	;; [unrolled: 3-line block ×3, first 2 shown]
	v_mul_f16_sdwa v78, v42, v54 dst_sel:DWORD dst_unused:UNUSED_PAD src0_sel:DWORD src1_sel:WORD_1
	v_fma_f16 v42, v42, v54, -v77
	v_fma_f16 v54, v67, v54, v78
	v_pack_b32_f16 v42, v42, v54
	v_mul_f16_sdwa v54, v68, v55 dst_sel:DWORD dst_unused:UNUSED_PAD src0_sel:DWORD src1_sel:WORD_1
	v_mul_f16_sdwa v67, v43, v55 dst_sel:DWORD dst_unused:UNUSED_PAD src0_sel:DWORD src1_sel:WORD_1
	;; [unrolled: 1-line block ×5, first 2 shown]
	s_waitcnt vmcnt(6)
	v_mul_f16_sdwa v85, v73, v60 dst_sel:DWORD dst_unused:UNUSED_PAD src0_sel:DWORD src1_sel:WORD_1
	v_mul_f16_sdwa v86, v48, v60 dst_sel:DWORD dst_unused:UNUSED_PAD src0_sel:DWORD src1_sel:WORD_1
	s_waitcnt vmcnt(5)
	v_mul_f16_sdwa v87, v74, v61 dst_sel:DWORD dst_unused:UNUSED_PAD src0_sel:DWORD src1_sel:WORD_1
	v_mul_f16_sdwa v88, v49, v61 dst_sel:DWORD dst_unused:UNUSED_PAD src0_sel:DWORD src1_sel:WORD_1
	;; [unrolled: 3-line block ×4, first 2 shown]
	v_fma_f16 v43, v43, v55, -v54
	v_fma_f16 v54, v68, v55, v67
	v_fma_f16 v44, v44, v56, -v77
	v_fma_f16 v55, v69, v56, v78
	v_fma_f16 v45, v45, v57, -v79
	v_fma_f16 v56, v70, v57, v80
	v_fma_f16 v46, v46, v58, -v81
	v_fma_f16 v57, v71, v58, v82
	v_fma_f16 v47, v47, v59, -v83
	v_fma_f16 v58, v72, v59, v84
	v_fma_f16 v48, v48, v60, -v85
	v_fma_f16 v59, v73, v60, v86
	v_fma_f16 v49, v49, v61, -v87
	v_fma_f16 v60, v74, v61, v88
	v_fma_f16 v50, v50, v62, -v89
	v_fma_f16 v61, v75, v62, v90
	v_fma_f16 v51, v51, v63, -v91
	v_fma_f16 v62, v76, v63, v92
	v_pack_b32_f16 v43, v43, v54
	v_pack_b32_f16 v44, v44, v55
	;; [unrolled: 1-line block ×9, first 2 shown]
	ds_write2_b32 v31, v42, v43 offset1:9
	ds_write2_b32 v31, v44, v45 offset0:18 offset1:27
	ds_write2_b32 v31, v46, v47 offset0:36 offset1:45
	ds_write2_b32 v31, v48, v49 offset0:54 offset1:63
	ds_write2_b32 v31, v50, v51 offset0:72 offset1:81
	s_waitcnt lgkmcnt(5)
	v_lshrrev_b32_e32 v42, 16, v52
	s_waitcnt vmcnt(2)
	v_mul_f16_sdwa v43, v42, v64 dst_sel:DWORD dst_unused:UNUSED_PAD src0_sel:DWORD src1_sel:WORD_1
	v_mul_f16_sdwa v44, v52, v64 dst_sel:DWORD dst_unused:UNUSED_PAD src0_sel:DWORD src1_sel:WORD_1
	v_fma_f16 v43, v52, v64, -v43
	v_fma_f16 v42, v42, v64, v44
	ds_read_b32 v45, v31 offset:432
	v_pack_b32_f16 v42, v43, v42
	v_lshrrev_b32_e32 v43, 16, v53
	s_waitcnt vmcnt(1)
	v_mul_f16_sdwa v44, v43, v65 dst_sel:DWORD dst_unused:UNUSED_PAD src0_sel:DWORD src1_sel:WORD_1
	v_mul_f16_sdwa v46, v53, v65 dst_sel:DWORD dst_unused:UNUSED_PAD src0_sel:DWORD src1_sel:WORD_1
	v_fma_f16 v44, v53, v65, -v44
	v_fma_f16 v43, v43, v65, v46
	v_pack_b32_f16 v43, v44, v43
	ds_write2_b32 v31, v42, v43 offset0:90 offset1:99
	s_waitcnt lgkmcnt(1)
	v_lshrrev_b32_e32 v42, 16, v45
	s_waitcnt vmcnt(0)
	v_mul_f16_sdwa v43, v42, v66 dst_sel:DWORD dst_unused:UNUSED_PAD src0_sel:DWORD src1_sel:WORD_1
	v_mul_f16_sdwa v44, v45, v66 dst_sel:DWORD dst_unused:UNUSED_PAD src0_sel:DWORD src1_sel:WORD_1
	v_fma_f16 v43, v45, v66, -v43
	v_fma_f16 v42, v42, v66, v44
	v_pack_b32_f16 v42, v43, v42
	ds_write_b32 v31, v42 offset:432
.LBB0_9:
	s_or_b64 exec, exec, s[0:1]
	s_waitcnt lgkmcnt(0)
	; wave barrier
	s_waitcnt lgkmcnt(0)
	s_and_saveexec_b64 s[0:1], vcc
	s_cbranch_execz .LBB0_11
; %bb.10:
	ds_read2_b32 v[13:14], v31 offset1:9
	ds_read2_b32 v[15:16], v31 offset0:18 offset1:27
	ds_read2_b32 v[19:20], v31 offset0:36 offset1:45
	;; [unrolled: 1-line block ×5, first 2 shown]
	ds_read_b32 v26, v31 offset:432
	s_waitcnt lgkmcnt(6)
	v_lshrrev_b32_e32 v33, 16, v13
	v_lshrrev_b32_e32 v34, 16, v14
	s_waitcnt lgkmcnt(5)
	v_lshrrev_b32_e32 v35, 16, v15
	v_lshrrev_b32_e32 v38, 16, v16
	;; [unrolled: 3-line block ×6, first 2 shown]
	s_waitcnt lgkmcnt(0)
	v_lshrrev_b32_e32 v30, 16, v26
.LBB0_11:
	s_or_b64 exec, exec, s[0:1]
	s_waitcnt lgkmcnt(0)
	; wave barrier
	s_and_saveexec_b64 s[0:1], vcc
	s_cbranch_execz .LBB0_13
; %bb.12:
	v_sub_f16_e32 v42, v14, v26
	v_mul_f16_e32 v43, 0xb94e, v42
	v_add_f16_e32 v44, v30, v34
	s_mov_b32 s2, 0xb9fd
	v_sub_f16_e32 v46, v15, v10
	v_fma_f16 v45, v44, s2, v43
	v_mul_f16_e32 v47, 0x3bf1, v46
	v_add_f16_e32 v48, v27, v35
	s_movk_i32 s4, 0x2fb7
	v_add_f16_e32 v45, v33, v45
	v_fma_f16 v49, v48, s4, v47
	v_add_f16_e32 v45, v49, v45
	v_sub_f16_e32 v49, v16, v9
	v_mul_f16_e32 v50, 0xba95, v49
	v_add_f16_e32 v51, v28, v38
	s_movk_i32 s14, 0x388b
	v_fma_f16 v52, v51, s14, v50
	v_add_f16_e32 v45, v52, v45
	v_sub_f16_e32 v52, v19, v12
	v_mul_f16_e32 v53, 0x33a8, v52
	v_add_f16_e32 v54, v29, v40
	s_mov_b32 s5, 0xbbc4
	v_fma_f16 v55, v54, s5, v53
	v_add_f16_e32 v45, v55, v45
	v_sub_f16_e32 v55, v20, v11
	v_mul_f16_e32 v56, 0x3770, v55
	v_add_f16_e32 v57, v36, v41
	s_movk_i32 s16, 0x3b15
	v_fma_f16 v58, v57, s16, v56
	v_add_f16_e32 v45, v58, v45
	v_sub_f16_e32 v58, v17, v18
	v_mul_f16_e32 v59, 0xbb7b, v58
	v_add_f16_e32 v60, v37, v39
	s_mov_b32 s17, 0xb5ac
	v_fma_f16 v61, v60, s17, v59
	v_sub_f16_e32 v62, v34, v30
	v_add_f16_e32 v45, v61, v45
	v_add_f16_e32 v61, v26, v14
	v_mul_f16_e32 v63, 0xb94e, v62
	v_sub_f16_e32 v66, v35, v27
	v_fma_f16 v64, v61, s2, -v63
	v_add_f16_e32 v65, v10, v15
	v_mul_f16_e32 v67, 0x3bf1, v66
	v_add_f16_e32 v64, v13, v64
	v_fma_f16 v68, v65, s4, -v67
	v_sub_f16_e32 v69, v38, v28
	v_add_f16_e32 v64, v68, v64
	v_add_f16_e32 v68, v9, v16
	v_mul_f16_e32 v70, 0xba95, v69
	v_fma_f16 v71, v68, s14, -v70
	v_sub_f16_e32 v72, v40, v29
	v_add_f16_e32 v64, v71, v64
	v_add_f16_e32 v71, v12, v19
	v_mul_f16_e32 v73, 0x33a8, v72
	;; [unrolled: 5-line block ×3, first 2 shown]
	v_fma_f16 v77, v74, s16, -v76
	v_sub_f16_e32 v78, v39, v37
	v_fma_f16 v43, v44, s2, -v43
	v_add_f16_e32 v64, v77, v64
	v_add_f16_e32 v77, v18, v17
	v_mul_f16_e32 v79, 0xbb7b, v78
	v_add_f16_e32 v43, v33, v43
	v_fma_f16 v47, v48, s4, -v47
	v_fma_f16 v80, v77, s17, -v79
	v_add_f16_e32 v43, v47, v43
	v_fma_f16 v47, v51, s14, -v50
	v_add_f16_e32 v64, v80, v64
	v_mul_f16_e32 v80, 0xb3a8, v42
	v_add_f16_e32 v43, v47, v43
	v_fma_f16 v47, v54, s5, -v53
	v_fma_f16 v81, v44, s5, v80
	v_mul_f16_e32 v82, 0x3770, v46
	v_add_f16_e32 v43, v47, v43
	v_fma_f16 v47, v57, s16, -v56
	v_add_f16_e32 v81, v33, v81
	v_fma_f16 v83, v48, s16, v82
	v_add_f16_e32 v43, v47, v43
	v_fma_f16 v47, v60, s17, -v59
	v_add_f16_e32 v81, v83, v81
	v_mul_f16_e32 v83, 0xb94e, v49
	v_add_f16_e32 v43, v47, v43
	v_fma_f16 v47, v61, s2, v63
	v_fma_f16 v84, v51, s2, v83
	v_add_f16_e32 v47, v13, v47
	v_fma_f16 v50, v65, s4, v67
	v_add_f16_e32 v81, v84, v81
	v_mul_f16_e32 v84, 0x3a95, v52
	v_add_f16_e32 v47, v50, v47
	v_fma_f16 v50, v68, s14, v70
	v_fma_f16 v85, v54, s14, v84
	v_add_f16_e32 v47, v50, v47
	v_fma_f16 v50, v71, s5, v73
	;; [unrolled: 7-line block ×3, first 2 shown]
	v_add_f16_e32 v81, v86, v81
	v_mul_f16_e32 v86, 0x3bf1, v58
	v_add_f16_e32 v47, v50, v47
	v_mul_f16_e32 v50, 0xb5ac, v44
	s_movk_i32 s27, 0x3b7b
	s_mov_b32 s3, 0xb94e
	v_fma_f16 v87, v60, s4, v86
	v_fma_f16 v80, v44, s5, -v80
	v_fma_f16 v53, v42, s27, v50
	v_mul_f16_e32 v56, 0xb9fd, v48
	v_add_f16_e32 v81, v87, v81
	v_mul_f16_e32 v87, 0xb3a8, v62
	v_add_f16_e32 v80, v33, v80
	v_fma_f16 v82, v48, s16, -v82
	v_add_f16_e32 v53, v33, v53
	v_fma_f16 v59, v46, s3, v56
	v_fma_f16 v88, v61, s5, -v87
	v_mul_f16_e32 v89, 0x3770, v66
	v_add_f16_e32 v80, v82, v80
	v_fma_f16 v82, v51, s2, -v83
	v_add_f16_e32 v53, v59, v53
	v_mul_f16_e32 v59, 0x3b15, v51
	s_mov_b32 s24, 0xb770
	v_add_f16_e32 v88, v13, v88
	v_fma_f16 v90, v65, s16, -v89
	v_add_f16_e32 v80, v82, v80
	v_fma_f16 v82, v54, s14, -v84
	v_fma_f16 v63, v49, s24, v59
	s_movk_i32 s18, 0x3bf1
	v_add_f16_e32 v88, v90, v88
	v_mul_f16_e32 v90, 0xb94e, v69
	v_add_f16_e32 v80, v82, v80
	v_fma_f16 v82, v57, s17, -v85
	v_add_f16_e32 v53, v63, v53
	v_mul_f16_e32 v63, 0x2fb7, v54
	v_fma_f16 v91, v68, s2, -v90
	v_add_f16_e32 v80, v82, v80
	v_fma_f16 v82, v60, s4, -v86
	v_fma_f16 v67, v52, s18, v63
	s_mov_b32 s21, 0xb3a8
	v_add_f16_e32 v88, v91, v88
	v_mul_f16_e32 v91, 0x3a95, v72
	v_add_f16_e32 v80, v82, v80
	v_fma_f16 v82, v61, s5, v87
	v_add_f16_e32 v53, v67, v53
	v_mul_f16_e32 v67, 0xbbc4, v57
	v_fma_f16 v92, v71, s14, -v91
	v_add_f16_e32 v82, v13, v82
	v_fma_f16 v83, v65, s16, v89
	v_fma_f16 v70, v55, s21, v67
	s_mov_b32 s15, 0xba95
	v_add_f16_e32 v88, v92, v88
	v_mul_f16_e32 v92, 0xbb7b, v75
	v_add_f16_e32 v82, v83, v82
	v_fma_f16 v83, v68, s2, v90
	v_add_f16_e32 v53, v70, v53
	v_mul_f16_e32 v70, 0x388b, v60
	v_fma_f16 v93, v74, s17, -v92
	v_add_f16_e32 v82, v83, v82
	v_fma_f16 v83, v71, s14, v91
	v_fma_f16 v73, v58, s15, v70
	v_add_f16_e32 v88, v93, v88
	v_mul_f16_e32 v93, 0x3bf1, v78
	v_add_f16_e32 v82, v83, v82
	v_fma_f16 v83, v74, s17, v92
	v_add_f16_e32 v53, v73, v53
	v_mul_f16_e32 v73, 0xbb7b, v62
	v_add_f16_e32 v82, v83, v82
	v_fma_f16 v83, v77, s4, v93
	v_fma_f16 v76, v61, s17, v73
	v_mul_f16_e32 v79, 0x394e, v66
	v_add_f16_e32 v82, v83, v82
	v_add_f16_e32 v76, v13, v76
	v_fma_f16 v83, v65, s2, v79
	v_add_f16_e32 v76, v83, v76
	v_mul_f16_e32 v83, 0x3770, v69
	v_fma_f16 v84, v68, s16, v83
	v_add_f16_e32 v76, v84, v76
	v_mul_f16_e32 v84, 0xbbf1, v72
	;; [unrolled: 3-line block ×5, first 2 shown]
	v_add_f16_e32 v14, v14, v13
	s_movk_i32 s22, 0x33a8
	v_fma_f16 v89, v42, s18, v87
	v_mul_f16_e32 v90, 0xbbc4, v48
	v_add_f16_e32 v14, v15, v14
	v_add_f16_e32 v89, v33, v89
	v_fma_f16 v91, v46, s22, v90
	v_add_f16_e32 v14, v16, v14
	s_mov_b32 s19, 0xbb7b
	v_add_f16_e32 v89, v91, v89
	v_mul_f16_e32 v91, 0xb5ac, v51
	v_add_f16_e32 v14, v19, v14
	v_fma_f16 v92, v49, s19, v91
	v_add_f16_e32 v14, v20, v14
	v_add_f16_e32 v89, v92, v89
	v_mul_f16_e32 v92, 0x3b15, v54
	v_add_f16_e32 v14, v17, v14
	v_fma_f16 v94, v77, s4, -v93
	v_fma_f16 v93, v52, s24, v92
	v_add_f16_e32 v14, v18, v14
	v_add_f16_e32 v89, v93, v89
	v_mul_f16_e32 v93, 0x388b, v57
	v_add_f16_e32 v11, v11, v14
	v_add_f16_e32 v88, v94, v88
	v_fma_f16 v94, v55, s23, v93
	v_add_f16_e32 v11, v12, v11
	s_movk_i32 s26, 0x394e
	v_add_f16_e32 v89, v94, v89
	v_mul_f16_e32 v94, 0xb9fd, v60
	v_add_f16_e32 v9, v9, v11
	v_fma_f16 v11, v42, s19, v50
	s_movk_i32 s20, 0x3770
	v_fma_f16 v95, v58, s26, v94
	v_add_f16_e32 v11, v33, v11
	v_fma_f16 v12, v46, s26, v56
	s_mov_b32 s25, 0xbbf1
	v_add_f16_e32 v89, v95, v89
	v_mul_f16_e32 v95, 0xbbf1, v62
	v_add_f16_e32 v11, v12, v11
	v_fma_f16 v12, v49, s20, v59
	v_fma_f16 v96, v61, s4, v95
	v_mul_f16_e32 v97, 0xb3a8, v66
	v_add_f16_e32 v11, v12, v11
	v_fma_f16 v12, v52, s25, v63
	v_add_f16_e32 v96, v13, v96
	v_fma_f16 v98, v65, s5, v97
	;; [unrolled: 2-line block ×3, first 2 shown]
	v_add_f16_e32 v96, v98, v96
	v_mul_f16_e32 v98, 0x3b7b, v69
	v_add_f16_e32 v11, v12, v11
	v_fma_f16 v12, v58, s23, v70
	v_fma_f16 v99, v68, s17, v98
	v_add_f16_e32 v11, v12, v11
	v_fma_f16 v12, v61, s17, -v73
	v_add_f16_e32 v96, v99, v96
	v_mul_f16_e32 v99, 0x3770, v72
	v_add_f16_e32 v12, v13, v12
	v_fma_f16 v14, v65, s2, -v79
	v_fma_f16 v100, v71, s16, v99
	v_add_f16_e32 v12, v14, v12
	v_fma_f16 v14, v68, s16, -v83
	v_add_f16_e32 v96, v100, v96
	v_mul_f16_e32 v100, 0xba95, v75
	v_add_f16_e32 v12, v14, v12
	v_fma_f16 v14, v71, s4, -v84
	;; [unrolled: 7-line block ×3, first 2 shown]
	v_fma_f16 v102, v77, s2, v101
	v_add_f16_e32 v12, v14, v12
	v_fma_f16 v14, v42, s25, v87
	v_add_f16_e32 v96, v102, v96
	v_mul_f16_e32 v102, 0x388b, v44
	v_add_f16_e32 v14, v33, v14
	v_fma_f16 v15, v46, s21, v90
	v_fma_f16 v103, v42, s23, v102
	v_mul_f16_e32 v104, 0xb5ac, v48
	v_add_f16_e32 v14, v15, v14
	v_fma_f16 v15, v49, s27, v91
	v_add_f16_e32 v103, v33, v103
	v_fma_f16 v105, v46, s27, v104
	;; [unrolled: 2-line block ×3, first 2 shown]
	v_add_f16_e32 v103, v105, v103
	v_mul_f16_e32 v105, 0xbbc4, v51
	v_add_f16_e32 v14, v15, v14
	v_fma_f16 v15, v55, s15, v93
	v_fma_f16 v106, v49, s22, v105
	v_add_f16_e32 v14, v15, v14
	v_fma_f16 v15, v58, s3, v94
	v_add_f16_e32 v103, v106, v103
	v_mul_f16_e32 v106, 0xb9fd, v54
	v_add_f16_e32 v14, v15, v14
	v_fma_f16 v15, v61, s4, -v95
	v_fma_f16 v107, v52, s3, v106
	v_add_f16_e32 v15, v13, v15
	v_fma_f16 v16, v65, s5, -v97
	v_add_f16_e32 v103, v107, v103
	v_mul_f16_e32 v107, 0x2fb7, v57
	v_add_f16_e32 v15, v16, v15
	v_fma_f16 v16, v68, s17, -v98
	v_fma_f16 v108, v55, s25, v107
	v_add_f16_e32 v15, v16, v15
	v_fma_f16 v16, v71, s16, -v99
	;; [unrolled: 7-line block ×3, first 2 shown]
	v_add_f16_e32 v103, v109, v103
	v_mul_f16_e32 v109, 0xba95, v62
	v_add_f16_e32 v15, v16, v15
	v_fma_f16 v16, v42, s15, v102
	v_fma_f16 v110, v61, s14, v109
	v_mul_f16_e32 v111, 0xbb7b, v66
	v_add_f16_e32 v16, v33, v16
	v_fma_f16 v17, v46, s19, v104
	v_add_f16_e32 v110, v13, v110
	v_fma_f16 v112, v65, s17, v111
	v_add_f16_e32 v16, v17, v16
	v_fma_f16 v17, v49, s21, v105
	v_add_f16_e32 v110, v112, v110
	v_mul_f16_e32 v112, 0xb3a8, v69
	v_add_f16_e32 v16, v17, v16
	v_fma_f16 v17, v52, s26, v106
	v_fma_f16 v113, v68, s5, v112
	v_add_f16_e32 v16, v17, v16
	v_fma_f16 v17, v55, s18, v107
	v_add_f16_e32 v110, v113, v110
	v_mul_f16_e32 v113, 0x394e, v72
	v_add_f16_e32 v16, v17, v16
	v_fma_f16 v17, v58, s20, v108
	v_fma_f16 v114, v71, s2, v113
	v_add_f16_e32 v16, v17, v16
	v_fma_f16 v17, v61, s14, -v109
	v_add_f16_e32 v110, v114, v110
	v_mul_f16_e32 v114, 0x3bf1, v75
	v_add_f16_e32 v17, v13, v17
	v_fma_f16 v18, v65, s17, -v111
	v_fma_f16 v115, v74, s4, v114
	v_add_f16_e32 v17, v18, v17
	v_fma_f16 v18, v68, s5, -v112
	v_add_f16_e32 v110, v115, v110
	v_mul_f16_e32 v115, 0x3770, v78
	v_add_f16_e32 v17, v18, v17
	v_fma_f16 v18, v71, s2, -v113
	v_fma_f16 v116, v77, s16, v115
	v_mul_f16_e32 v44, 0x3b15, v44
	v_add_f16_e32 v17, v18, v17
	v_fma_f16 v18, v74, s4, -v114
	v_add_f16_e32 v110, v116, v110
	v_fma_f16 v116, v42, s20, v44
	v_mul_f16_e32 v48, 0x388b, v48
	v_add_f16_e32 v17, v18, v17
	v_fma_f16 v18, v77, s16, -v115
	v_add_f16_e32 v116, v33, v116
	v_fma_f16 v117, v46, s23, v48
	v_mul_f16_e32 v51, 0x2fb7, v51
	v_add_f16_e32 v9, v10, v9
	v_add_f16_e32 v10, v34, v33
	;; [unrolled: 1-line block ×3, first 2 shown]
	v_fma_f16 v18, v42, s24, v44
	v_add_f16_e32 v116, v117, v116
	v_fma_f16 v117, v49, s18, v51
	v_mul_f16_e32 v54, 0xb5ac, v54
	v_add_f16_e32 v10, v35, v10
	v_add_f16_e32 v18, v33, v18
	v_fma_f16 v19, v46, s15, v48
	v_add_f16_e32 v116, v117, v116
	v_fma_f16 v117, v52, s27, v54
	v_mul_f16_e32 v57, 0xb9fd, v57
	v_add_f16_e32 v10, v38, v10
	v_add_f16_e32 v18, v19, v18
	v_fma_f16 v19, v49, s25, v51
	v_add_f16_e32 v116, v117, v116
	v_fma_f16 v117, v55, s26, v57
	v_mul_f16_e32 v60, 0xbbc4, v60
	v_add_f16_e32 v10, v40, v10
	v_add_f16_e32 v18, v19, v18
	v_fma_f16 v19, v52, s19, v54
	v_add_f16_e32 v116, v117, v116
	v_fma_f16 v117, v58, s22, v60
	v_mul_f16_e32 v62, 0xb770, v62
	v_add_f16_e32 v10, v41, v10
	v_add_f16_e32 v18, v19, v18
	v_fma_f16 v19, v55, s3, v57
	v_add_f16_e32 v116, v117, v116
	v_fma_f16 v117, v61, s16, v62
	v_mul_f16_e32 v66, 0xba95, v66
	v_add_f16_e32 v10, v39, v10
	v_add_f16_e32 v18, v19, v18
	v_fma_f16 v19, v58, s21, v60
	v_add_f16_e32 v117, v13, v117
	v_fma_f16 v118, v65, s14, v66
	v_mul_f16_e32 v69, 0xbbf1, v69
	v_add_f16_e32 v10, v37, v10
	v_add_f16_e32 v18, v19, v18
	v_fma_f16 v19, v61, s16, -v62
	v_add_f16_e32 v117, v118, v117
	v_fma_f16 v118, v68, s4, v69
	v_mul_f16_e32 v72, 0xbb7b, v72
	v_add_f16_e32 v10, v36, v10
	v_add_f16_e32 v13, v13, v19
	v_fma_f16 v19, v65, s14, -v66
	v_add_f16_e32 v117, v118, v117
	v_fma_f16 v118, v71, s17, v72
	v_mul_f16_e32 v75, 0xb94e, v75
	v_add_f16_e32 v10, v29, v10
	v_add_f16_e32 v13, v19, v13
	;; [unrolled: 6-line block ×3, first 2 shown]
	v_fma_f16 v19, v71, s17, -v72
	v_add_f16_e32 v117, v118, v117
	v_fma_f16 v118, v77, s5, v78
	v_add_f16_e32 v10, v27, v10
	v_add_f16_e32 v13, v19, v13
	v_fma_f16 v19, v74, s2, -v75
	v_add_f16_e32 v117, v118, v117
	v_add_f16_e32 v9, v26, v9
	;; [unrolled: 1-line block ×4, first 2 shown]
	v_fma_f16 v19, v77, s5, -v78
	v_add_f16_e32 v13, v19, v13
	v_lshl_add_u32 v19, v25, 2, v24
	v_pack_b32_f16 v20, v117, v116
	v_pack_b32_f16 v9, v9, v10
	ds_write2_b32 v19, v9, v20 offset1:1
	v_pack_b32_f16 v9, v96, v89
	v_pack_b32_f16 v10, v110, v103
	ds_write2_b32 v19, v10, v9 offset0:2 offset1:3
	v_pack_b32_f16 v9, v47, v43
	v_pack_b32_f16 v10, v76, v53
	ds_write2_b32 v19, v10, v9 offset0:4 offset1:5
	;; [unrolled: 3-line block ×5, first 2 shown]
	v_pack_b32_f16 v9, v13, v18
	ds_write_b32 v19, v9 offset:48
.LBB0_13:
	s_or_b64 exec, exec, s[0:1]
	s_waitcnt lgkmcnt(0)
	; wave barrier
	s_waitcnt lgkmcnt(0)
	ds_read2_b32 v[9:10], v32 offset1:13
	ds_read2_b32 v[11:12], v32 offset0:26 offset1:39
	ds_read2_b32 v[13:14], v32 offset0:52 offset1:65
	;; [unrolled: 1-line block ×3, first 2 shown]
	ds_read_b32 v24, v32 offset:416
	s_waitcnt lgkmcnt(4)
	v_lshrrev_b32_e32 v18, 16, v10
	v_mul_f16_sdwa v30, v0, v18 dst_sel:DWORD dst_unused:UNUSED_PAD src0_sel:WORD_1 src1_sel:DWORD
	s_waitcnt lgkmcnt(3)
	v_lshrrev_b32_e32 v19, 16, v11
	v_fma_f16 v30, v0, v10, v30
	v_mul_f16_sdwa v10, v0, v10 dst_sel:DWORD dst_unused:UNUSED_PAD src0_sel:WORD_1 src1_sel:DWORD
	v_fma_f16 v0, v0, v18, -v10
	v_mul_f16_sdwa v10, v1, v19 dst_sel:DWORD dst_unused:UNUSED_PAD src0_sel:WORD_1 src1_sel:DWORD
	v_lshrrev_b32_e32 v20, 16, v12
	v_fma_f16 v10, v1, v11, v10
	v_mul_f16_sdwa v11, v1, v11 dst_sel:DWORD dst_unused:UNUSED_PAD src0_sel:WORD_1 src1_sel:DWORD
	v_fma_f16 v1, v1, v19, -v11
	v_mul_f16_sdwa v11, v2, v20 dst_sel:DWORD dst_unused:UNUSED_PAD src0_sel:WORD_1 src1_sel:DWORD
	s_waitcnt lgkmcnt(2)
	v_lshrrev_b32_e32 v25, 16, v13
	v_fma_f16 v11, v2, v12, v11
	v_mul_f16_sdwa v12, v2, v12 dst_sel:DWORD dst_unused:UNUSED_PAD src0_sel:WORD_1 src1_sel:DWORD
	v_fma_f16 v2, v2, v20, -v12
	v_mul_f16_sdwa v12, v3, v25 dst_sel:DWORD dst_unused:UNUSED_PAD src0_sel:WORD_1 src1_sel:DWORD
	v_lshrrev_b32_e32 v26, 16, v14
	v_fma_f16 v12, v3, v13, v12
	v_mul_f16_sdwa v13, v3, v13 dst_sel:DWORD dst_unused:UNUSED_PAD src0_sel:WORD_1 src1_sel:DWORD
	v_fma_f16 v3, v3, v25, -v13
	;; [unrolled: 11-line block ×3, first 2 shown]
	v_mul_f16_sdwa v15, v6, v28 dst_sel:DWORD dst_unused:UNUSED_PAD src0_sel:WORD_1 src1_sel:DWORD
	s_waitcnt lgkmcnt(0)
	v_lshrrev_b32_e32 v29, 16, v24
	v_fma_f16 v15, v6, v16, v15
	v_mul_f16_sdwa v16, v6, v16 dst_sel:DWORD dst_unused:UNUSED_PAD src0_sel:WORD_1 src1_sel:DWORD
	v_fma_f16 v6, v6, v28, -v16
	v_mul_f16_sdwa v16, v7, v29 dst_sel:DWORD dst_unused:UNUSED_PAD src0_sel:WORD_1 src1_sel:DWORD
	v_fma_f16 v16, v7, v24, v16
	v_mul_f16_sdwa v18, v7, v24 dst_sel:DWORD dst_unused:UNUSED_PAD src0_sel:WORD_1 src1_sel:DWORD
	v_fma_f16 v7, v7, v29, -v18
	v_add_f16_e32 v18, v30, v16
	v_sub_f16_e32 v16, v30, v16
	v_add_f16_e32 v19, v0, v7
	v_add_f16_e32 v24, v1, v6
	;; [unrolled: 1-line block ×4, first 2 shown]
	v_sub_f16_e32 v0, v0, v7
	v_sub_f16_e32 v7, v10, v15
	;; [unrolled: 1-line block ×5, first 2 shown]
	v_mul_f16_e32 v5, 0x3924, v16
	s_movk_i32 s0, 0x3be1
	v_sub_f16_e32 v11, v12, v13
	v_sub_f16_e32 v14, v3, v4
	v_add_f16_e32 v20, v10, v15
	v_mul_f16_e32 v10, 0x3924, v0
	v_fma_f16 v5, v7, s0, v5
	s_movk_i32 s1, 0x3aee
	v_mul_f16_e32 v30, 0xb924, v11
	v_mul_f16_e32 v32, 0xb924, v14
	v_fma_f16 v10, v1, s0, v10
	v_fma_f16 v5, v6, s1, v5
	s_movk_i32 s2, 0x3579
	v_fma_f16 v30, v16, s0, v30
	v_fma_f16 v32, v0, s0, v32
	s_mov_b32 s0, 0xbaee
	v_fma_f16 v10, v2, s1, v10
	v_fma_f16 v5, v11, s2, v5
	s_mov_b32 s14, 0xb924
	v_fma_f16 v30, v6, s0, v30
	v_add_f16_e32 v35, v11, v16
	v_mul_f16_e32 v11, 0x3be1, v11
	v_fma_f16 v10, v14, s2, v10
	v_fma_f16 v32, v2, s0, v32
	;; [unrolled: 1-line block ×3, first 2 shown]
	v_add_f16_e32 v36, v14, v0
	v_sub_f16_e32 v35, v35, v7
	v_mul_f16_e32 v14, 0x3be1, v14
	v_fma_f16 v7, v7, s14, -v11
	v_fma_f16 v32, v1, s2, v32
	v_sub_f16_e32 v36, v36, v1
	v_add_f16_e32 v42, v24, v19
	v_fma_f16 v1, v1, s14, -v14
	v_fma_f16 v6, v6, s1, v7
	v_lshrrev_b32_e32 v17, 16, v9
	s_movk_i32 s3, 0x3a21
	v_fma_f16 v1, v2, s1, v1
	v_fma_f16 v2, v16, s2, v6
	v_add_f16_e32 v6, v26, v42
	v_fma_f16 v15, v18, s3, v9
	v_fma_f16 v27, v19, s3, v17
	s_movk_i32 s4, 0x318f
	v_add_f16_e32 v28, v12, v13
	v_add_f16_e32 v29, v3, v4
	;; [unrolled: 1-line block ×4, first 2 shown]
	v_fma_f16 v15, v20, s4, v15
	v_fma_f16 v27, v24, s4, v27
	;; [unrolled: 1-line block ×5, first 2 shown]
	v_add_f16_e32 v1, v25, v41
	v_add_f16_e32 v3, v4, v3
	v_fma_f16 v4, v20, s3, v9
	v_fma_f16 v6, v24, s3, v17
	v_fma_f16 v15, v25, -0.5, v15
	v_fma_f16 v27, v26, -0.5, v27
	s_mov_b32 s5, 0xbb84
	v_fma_f16 v33, v18, s4, v33
	v_fma_f16 v34, v19, s4, v34
	v_add_f16_e32 v1, v12, v1
	v_fma_f16 v4, v28, s4, v4
	v_fma_f16 v6, v29, s4, v6
	;; [unrolled: 1-line block ×4, first 2 shown]
	v_fma_f16 v33, v25, -0.5, v33
	v_fma_f16 v34, v26, -0.5, v34
	v_add_f16_e32 v39, v25, v9
	v_add_f16_e32 v40, v26, v17
	;; [unrolled: 1-line block ×5, first 2 shown]
	v_fma_f16 v4, v25, -0.5, v4
	v_fma_f16 v6, v26, -0.5, v6
	v_sub_f16_e32 v15, v15, v10
	v_add_f16_e32 v27, v5, v27
	v_fma_f16 v33, v20, s5, v33
	v_fma_f16 v34, v24, s5, v34
	v_fma_f16 v39, v43, -0.5, v39
	v_fma_f16 v40, v44, -0.5, v40
	v_add_f16_e32 v1, v1, v9
	v_add_f16_e32 v3, v3, v17
	v_fma_f16 v4, v18, s5, v4
	v_fma_f16 v6, v19, s5, v6
	v_sub_f16_e32 v33, v33, v32
	v_add_f16_e32 v34, v30, v34
	v_mul_f16_e32 v37, 0x3aee, v35
	v_mul_f16_e32 v38, 0x3aee, v36
	v_fma_f16 v36, v36, s0, v39
	v_fma_f16 v35, v35, s1, v40
	v_sub_f16_e32 v4, v4, v0
	v_add_f16_e32 v6, v2, v6
	v_pack_b32_f16 v1, v1, v3
	v_pack_b32_f16 v3, v15, v27
	v_fma_f16 v0, v0, 2.0, v4
	v_fma_f16 v2, v2, -2.0, v6
	ds_write2_b32 v31, v1, v3 offset1:13
	v_pack_b32_f16 v1, v33, v34
	v_pack_b32_f16 v3, v36, v35
	v_fma_f16 v32, v32, 2.0, v33
	v_fma_f16 v30, v30, -2.0, v34
	v_fma_f16 v38, v38, 2.0, v36
	v_fma_f16 v37, v37, -2.0, v35
	ds_write2_b32 v31, v1, v3 offset0:26 offset1:39
	v_pack_b32_f16 v1, v4, v6
	v_pack_b32_f16 v0, v0, v2
	v_fma_f16 v10, v10, 2.0, v15
	v_fma_f16 v5, v5, -2.0, v27
	ds_write2_b32 v31, v1, v0 offset0:52 offset1:65
	v_pack_b32_f16 v0, v38, v37
	v_pack_b32_f16 v1, v32, v30
	ds_write2_b32 v31, v0, v1 offset0:78 offset1:91
	v_pack_b32_f16 v0, v10, v5
	ds_write_b32 v31, v0 offset:416
	s_waitcnt lgkmcnt(0)
	; wave barrier
	s_waitcnt lgkmcnt(0)
	s_and_b64 exec, exec, vcc
	s_cbranch_execz .LBB0_15
; %bb.14:
	global_load_dword v9, v21, s[6:7]
	global_load_dword v7, v21, s[6:7] offset:36
	ds_read_b32 v15, v31
	v_mad_u64_u32 v[0:1], s[0:1], s10, v8, 0
	v_mad_u64_u32 v[2:3], s[0:1], s8, v22, 0
	v_mov_b32_e32 v4, 0x7c00
	v_lshl_add_u32 v5, v23, 2, v21
	v_mad_u64_u32 v[18:19], s[0:1], s11, v8, v[1:2]
	s_waitcnt lgkmcnt(0)
	v_lshrrev_b32_e32 v1, 16, v15
	v_mad_u64_u32 v[19:20], s[0:1], s9, v22, v[3:4]
	s_mov_b32 s14, 0x11811812
	s_mov_b32 s15, 0x3f818118
	v_mov_b32_e32 v3, v19
	s_movk_i32 s18, 0x1ff
	s_movk_i32 s17, 0xffe
	global_load_dword v10, v21, s[6:7] offset:72
	global_load_dword v11, v21, s[6:7] offset:108
	;; [unrolled: 1-line block ×6, first 2 shown]
	ds_read2_b32 v[16:17], v5 offset0:9 offset1:18
	s_movk_i32 s16, 0x40f
	s_mov_b32 s10, 0x8000
	s_waitcnt vmcnt(7)
	v_mul_f16_sdwa v8, v1, v9 dst_sel:DWORD dst_unused:UNUSED_PAD src0_sel:DWORD src1_sel:WORD_1
	v_fma_f16 v8, v15, v9, v8
	v_mul_f16_sdwa v15, v15, v9 dst_sel:DWORD dst_unused:UNUSED_PAD src0_sel:DWORD src1_sel:WORD_1
	v_cvt_f32_f16_e32 v8, v8
	v_fma_f16 v1, v9, v1, -v15
	v_cvt_f32_f16_e32 v1, v1
	s_waitcnt lgkmcnt(0)
	v_lshrrev_b32_e32 v15, 16, v16
	v_cvt_f64_f32_e32 v[8:9], v8
	s_waitcnt vmcnt(6)
	v_mul_f16_sdwa v20, v15, v7 dst_sel:DWORD dst_unused:UNUSED_PAD src0_sel:DWORD src1_sel:WORD_1
	v_cvt_f64_f32_e32 v[22:23], v1
	v_mov_b32_e32 v1, v18
	v_mul_f64 v[8:9], v[8:9], s[14:15]
	v_fma_f16 v20, v16, v7, v20
	v_mul_f64 v[18:19], v[22:23], s[14:15]
	v_cvt_f32_f16_e32 v20, v20
	v_lshlrev_b64 v[0:1], 2, v[0:1]
	v_mul_f16_sdwa v16, v16, v7 dst_sel:DWORD dst_unused:UNUSED_PAD src0_sel:DWORD src1_sel:WORD_1
	v_fma_f16 v7, v7, v15, -v16
	v_cvt_f32_f16_e32 v7, v7
	v_and_or_b32 v8, v9, s18, v8
	v_cmp_ne_u32_e32 vcc, 0, v8
	v_and_or_b32 v18, v19, s18, v18
	v_lshrrev_b32_e32 v22, 8, v9
	v_bfe_u32 v23, v9, 20, 11
	v_cndmask_b32_e64 v8, 0, 1, vcc
	v_cmp_ne_u32_e32 vcc, 0, v18
	v_lshrrev_b32_e32 v24, 8, v19
	v_bfe_u32 v25, v19, 20, 11
	v_sub_u32_e32 v26, 0x3f1, v23
	v_cndmask_b32_e64 v18, 0, 1, vcc
	v_and_or_b32 v8, v22, s17, v8
	v_sub_u32_e32 v27, 0x3f1, v25
	v_med3_i32 v22, v26, 0, 13
	v_and_or_b32 v18, v24, s17, v18
	v_or_b32_e32 v26, 0x1000, v8
	v_add_u32_e32 v23, 0xfffffc10, v23
	v_med3_i32 v24, v27, 0, 13
	v_cmp_ne_u32_e32 vcc, 0, v8
	v_or_b32_e32 v28, 0x1000, v18
	v_lshrrev_b32_e32 v30, v22, v26
	v_add_u32_e32 v25, 0xfffffc10, v25
	v_lshl_or_b32 v27, v23, 12, v8
	v_cndmask_b32_e64 v8, 0, 1, vcc
	v_cmp_ne_u32_e32 vcc, 0, v18
	v_lshrrev_b32_e32 v31, v24, v28
	v_lshlrev_b32_e32 v22, v22, v30
	v_lshl_or_b32 v29, v25, 12, v18
	v_cndmask_b32_e64 v18, 0, 1, vcc
	v_lshlrev_b32_e32 v24, v24, v31
	v_cmp_ne_u32_e32 vcc, v22, v26
	v_cndmask_b32_e64 v22, 0, 1, vcc
	v_cmp_ne_u32_e32 vcc, v24, v28
	v_cndmask_b32_e64 v24, 0, 1, vcc
	v_or_b32_e32 v22, v30, v22
	v_cmp_gt_i32_e32 vcc, 1, v23
	v_cndmask_b32_e32 v22, v27, v22, vcc
	v_or_b32_e32 v24, v31, v24
	v_cmp_gt_i32_e32 vcc, 1, v25
	v_and_b32_e32 v26, 7, v22
	v_cndmask_b32_e32 v24, v29, v24, vcc
	v_cmp_lt_i32_e32 vcc, 5, v26
	v_cmp_eq_u32_e64 s[0:1], 3, v26
	v_lshrrev_b32_e32 v22, 2, v22
	v_and_b32_e32 v27, 7, v24
	s_or_b64 vcc, s[0:1], vcc
	v_cmp_lt_i32_e64 s[2:3], 5, v27
	v_cmp_eq_u32_e64 s[4:5], 3, v27
	v_addc_co_u32_e32 v22, vcc, 0, v22, vcc
	v_lshrrev_b32_e32 v24, 2, v24
	s_or_b64 vcc, s[4:5], s[2:3]
	v_addc_co_u32_e32 v24, vcc, 0, v24, vcc
	v_cmp_gt_i32_e32 vcc, 31, v23
	v_cndmask_b32_e32 v22, v4, v22, vcc
	v_cmp_gt_i32_e32 vcc, 31, v25
	v_lshl_or_b32 v8, v8, 9, v4
	v_cndmask_b32_e32 v24, v4, v24, vcc
	v_cmp_eq_u32_e32 vcc, s16, v23
	v_lshrrev_b32_e32 v9, 16, v9
	v_lshl_or_b32 v18, v18, 9, v4
	v_cndmask_b32_e32 v8, v22, v8, vcc
	v_cmp_eq_u32_e32 vcc, s16, v25
	v_lshrrev_b32_e32 v19, 16, v19
	v_cndmask_b32_e32 v18, v24, v18, vcc
	v_and_or_b32 v8, v9, s10, v8
	v_and_or_b32 v18, v19, s10, v18
	v_and_b32_e32 v19, 0xffff, v8
	v_cvt_f64_f32_e32 v[8:9], v20
	v_lshl_or_b32 v18, v18, 16, v19
	v_mov_b32_e32 v19, s13
	v_add_co_u32_e32 v20, vcc, s12, v0
	v_mul_f64 v[8:9], v[8:9], s[14:15]
	v_addc_co_u32_e32 v19, vcc, v19, v1, vcc
	v_lshlrev_b64 v[0:1], 2, v[2:3]
	s_mul_hi_u32 s2, s8, 36
	v_add_co_u32_e32 v0, vcc, v20, v0
	v_addc_co_u32_e32 v1, vcc, v19, v1, vcc
	v_and_or_b32 v2, v9, s18, v8
	v_cmp_ne_u32_e32 vcc, 0, v2
	v_cndmask_b32_e64 v2, 0, 1, vcc
	v_lshrrev_b32_e32 v3, 8, v9
	v_and_or_b32 v8, v3, s17, v2
	v_bfe_u32 v3, v9, 20, 11
	global_store_dword v[0:1], v18, off
	v_sub_u32_e32 v18, 0x3f1, v3
	v_or_b32_e32 v2, 0x1000, v8
	v_med3_i32 v18, v18, 0, 13
	v_lshrrev_b32_e32 v19, v18, v2
	v_lshlrev_b32_e32 v18, v18, v19
	v_cmp_ne_u32_e32 vcc, v18, v2
	v_cndmask_b32_e64 v2, 0, 1, vcc
	v_add_u32_e32 v18, 0xfffffc10, v3
	v_or_b32_e32 v2, v19, v2
	v_lshl_or_b32 v3, v18, 12, v8
	v_cmp_gt_i32_e32 vcc, 1, v18
	v_cndmask_b32_e32 v2, v3, v2, vcc
	v_and_b32_e32 v3, 7, v2
	v_cmp_lt_i32_e32 vcc, 5, v3
	v_cmp_eq_u32_e64 s[0:1], 3, v3
	v_lshrrev_b32_e32 v15, 2, v2
	v_cvt_f64_f32_e32 v[2:3], v7
	s_or_b64 vcc, s[0:1], vcc
	v_addc_co_u32_e32 v7, vcc, 0, v15, vcc
	v_mul_f64 v[2:3], v[2:3], s[14:15]
	v_cmp_gt_i32_e32 vcc, 31, v18
	v_cndmask_b32_e32 v7, v4, v7, vcc
	v_cmp_ne_u32_e32 vcc, 0, v8
	v_cndmask_b32_e64 v8, 0, 1, vcc
	v_lshl_or_b32 v8, v8, 9, v4
	v_cmp_eq_u32_e32 vcc, s16, v18
	v_cndmask_b32_e32 v7, v7, v8, vcc
	v_and_or_b32 v2, v3, s18, v2
	v_lshrrev_b32_e32 v8, 16, v9
	v_cmp_ne_u32_e32 vcc, 0, v2
	v_and_or_b32 v7, v8, s10, v7
	v_cndmask_b32_e64 v2, 0, 1, vcc
	v_lshrrev_b32_e32 v8, 8, v3
	v_bfe_u32 v9, v3, 20, 11
	v_and_or_b32 v2, v8, s17, v2
	v_sub_u32_e32 v15, 0x3f1, v9
	v_or_b32_e32 v8, 0x1000, v2
	v_med3_i32 v15, v15, 0, 13
	v_lshrrev_b32_e32 v16, v15, v8
	v_lshlrev_b32_e32 v15, v15, v16
	v_cmp_ne_u32_e32 vcc, v15, v8
	v_cndmask_b32_e64 v8, 0, 1, vcc
	v_add_u32_e32 v9, 0xfffffc10, v9
	v_or_b32_e32 v8, v16, v8
	v_lshl_or_b32 v15, v9, 12, v2
	v_cmp_gt_i32_e32 vcc, 1, v9
	v_cndmask_b32_e32 v8, v15, v8, vcc
	v_and_b32_e32 v15, 7, v8
	v_cmp_lt_i32_e32 vcc, 5, v15
	v_cmp_eq_u32_e64 s[0:1], 3, v15
	v_lshrrev_b32_e32 v8, 2, v8
	s_or_b64 vcc, s[0:1], vcc
	v_addc_co_u32_e32 v8, vcc, 0, v8, vcc
	v_cmp_gt_i32_e32 vcc, 31, v9
	v_cndmask_b32_e32 v8, v4, v8, vcc
	v_cmp_ne_u32_e32 vcc, 0, v2
	v_cndmask_b32_e64 v2, 0, 1, vcc
	v_lshl_or_b32 v2, v2, 9, v4
	v_cmp_eq_u32_e32 vcc, s16, v9
	v_cndmask_b32_e32 v2, v8, v2, vcc
	v_lshrrev_b32_e32 v8, 16, v17
	s_waitcnt vmcnt(6)
	v_mul_f16_sdwa v9, v8, v10 dst_sel:DWORD dst_unused:UNUSED_PAD src0_sel:DWORD src1_sel:WORD_1
	v_fma_f16 v9, v17, v10, v9
	v_cvt_f32_f16_e32 v9, v9
	v_lshrrev_b32_e32 v3, 16, v3
	v_and_or_b32 v2, v3, s10, v2
	v_and_b32_e32 v3, 0xffff, v7
	v_lshl_or_b32 v7, v2, 16, v3
	v_cvt_f64_f32_e32 v[2:3], v9
	s_mul_i32 s0, s9, 36
	s_add_i32 s2, s2, s0
	s_mul_i32 s3, s8, 36
	v_mul_f64 v[2:3], v[2:3], s[14:15]
	v_mov_b32_e32 v9, s2
	v_add_co_u32_e32 v0, vcc, s3, v0
	v_addc_co_u32_e32 v1, vcc, v1, v9, vcc
	global_store_dword v[0:1], v7, off
	v_and_or_b32 v2, v3, s18, v2
	v_cmp_ne_u32_e32 vcc, 0, v2
	v_cndmask_b32_e64 v2, 0, 1, vcc
	v_lshrrev_b32_e32 v7, 8, v3
	v_bfe_u32 v9, v3, 20, 11
	v_and_or_b32 v2, v7, s17, v2
	v_sub_u32_e32 v15, 0x3f1, v9
	v_or_b32_e32 v7, 0x1000, v2
	v_med3_i32 v15, v15, 0, 13
	v_lshrrev_b32_e32 v16, v15, v7
	v_lshlrev_b32_e32 v15, v15, v16
	v_cmp_ne_u32_e32 vcc, v15, v7
	v_cndmask_b32_e64 v7, 0, 1, vcc
	v_or_b32_e32 v7, v16, v7
	v_mul_f16_sdwa v16, v17, v10 dst_sel:DWORD dst_unused:UNUSED_PAD src0_sel:DWORD src1_sel:WORD_1
	v_fma_f16 v8, v10, v8, -v16
	v_cvt_f32_f16_e32 v8, v8
	v_add_u32_e32 v9, 0xfffffc10, v9
	v_lshl_or_b32 v15, v9, 12, v2
	v_cmp_gt_i32_e32 vcc, 1, v9
	v_cndmask_b32_e32 v7, v15, v7, vcc
	v_and_b32_e32 v15, 7, v7
	v_lshrrev_b32_e32 v10, 2, v7
	v_cvt_f64_f32_e32 v[7:8], v8
	v_cmp_lt_i32_e32 vcc, 5, v15
	v_cmp_eq_u32_e64 s[0:1], 3, v15
	s_or_b64 vcc, s[0:1], vcc
	v_mul_f64 v[7:8], v[7:8], s[14:15]
	v_addc_co_u32_e32 v10, vcc, 0, v10, vcc
	v_cmp_gt_i32_e32 vcc, 31, v9
	v_cndmask_b32_e32 v10, v4, v10, vcc
	v_cmp_ne_u32_e32 vcc, 0, v2
	v_cndmask_b32_e64 v2, 0, 1, vcc
	v_lshl_or_b32 v2, v2, 9, v4
	v_cmp_eq_u32_e32 vcc, s16, v9
	v_cndmask_b32_e32 v2, v10, v2, vcc
	v_lshrrev_b32_e32 v3, 16, v3
	v_and_or_b32 v15, v3, s10, v2
	v_and_or_b32 v2, v8, s18, v7
	v_cmp_ne_u32_e32 vcc, 0, v2
	v_cndmask_b32_e64 v2, 0, 1, vcc
	v_lshrrev_b32_e32 v3, 8, v8
	v_and_or_b32 v7, v3, s17, v2
	v_bfe_u32 v3, v8, 20, 11
	v_sub_u32_e32 v9, 0x3f1, v3
	v_or_b32_e32 v2, 0x1000, v7
	v_med3_i32 v9, v9, 0, 13
	v_lshrrev_b32_e32 v10, v9, v2
	v_lshlrev_b32_e32 v9, v9, v10
	v_cmp_ne_u32_e32 vcc, v9, v2
	v_cndmask_b32_e64 v2, 0, 1, vcc
	v_add_u32_e32 v9, 0xfffffc10, v3
	v_or_b32_e32 v2, v10, v2
	v_lshl_or_b32 v3, v9, 12, v7
	v_cmp_gt_i32_e32 vcc, 1, v9
	v_cndmask_b32_e32 v2, v3, v2, vcc
	v_and_b32_e32 v3, 7, v2
	v_cmp_lt_i32_e32 vcc, 5, v3
	v_cmp_eq_u32_e64 s[0:1], 3, v3
	v_lshrrev_b32_e32 v2, 2, v2
	s_or_b64 vcc, s[0:1], vcc
	v_addc_co_u32_e32 v10, vcc, 0, v2, vcc
	ds_read2_b32 v[2:3], v5 offset0:27 offset1:36
	v_cmp_gt_i32_e32 vcc, 31, v9
	v_cndmask_b32_e32 v10, v4, v10, vcc
	v_cmp_ne_u32_e32 vcc, 0, v7
	v_cndmask_b32_e64 v7, 0, 1, vcc
	s_waitcnt lgkmcnt(0)
	v_lshrrev_b32_e32 v16, 16, v2
	s_waitcnt vmcnt(6)
	v_mul_f16_sdwa v17, v16, v11 dst_sel:DWORD dst_unused:UNUSED_PAD src0_sel:DWORD src1_sel:WORD_1
	v_fma_f16 v17, v2, v11, v17
	v_cvt_f32_f16_e32 v17, v17
	v_lshl_or_b32 v7, v7, 9, v4
	v_cmp_eq_u32_e32 vcc, s16, v9
	v_cndmask_b32_e32 v7, v10, v7, vcc
	v_cvt_f64_f32_e32 v[9:10], v17
	v_lshrrev_b32_e32 v8, 16, v8
	v_and_or_b32 v17, v8, s10, v7
	v_add_co_u32_e32 v0, vcc, s3, v0
	v_mul_f64 v[7:8], v[9:10], s[14:15]
	v_mov_b32_e32 v10, s2
	v_and_b32_e32 v15, 0xffff, v15
	v_addc_co_u32_e32 v1, vcc, v1, v10, vcc
	v_lshl_or_b32 v9, v17, 16, v15
	global_store_dword v[0:1], v9, off
	v_mul_f16_sdwa v2, v2, v11 dst_sel:DWORD dst_unused:UNUSED_PAD src0_sel:DWORD src1_sel:WORD_1
	v_and_or_b32 v7, v8, s18, v7
	v_cmp_ne_u32_e32 vcc, 0, v7
	v_cndmask_b32_e64 v7, 0, 1, vcc
	v_lshrrev_b32_e32 v9, 8, v8
	v_bfe_u32 v10, v8, 20, 11
	v_and_or_b32 v7, v9, s17, v7
	v_sub_u32_e32 v15, 0x3f1, v10
	v_or_b32_e32 v9, 0x1000, v7
	v_med3_i32 v15, v15, 0, 13
	v_lshrrev_b32_e32 v17, v15, v9
	v_lshlrev_b32_e32 v15, v15, v17
	v_cmp_ne_u32_e32 vcc, v15, v9
	v_fma_f16 v2, v11, v16, -v2
	v_cndmask_b32_e64 v9, 0, 1, vcc
	v_add_u32_e32 v15, 0xfffffc10, v10
	v_cvt_f32_f16_e32 v2, v2
	v_or_b32_e32 v9, v17, v9
	v_lshl_or_b32 v10, v15, 12, v7
	v_cmp_gt_i32_e32 vcc, 1, v15
	v_cndmask_b32_e32 v9, v10, v9, vcc
	v_and_b32_e32 v10, 7, v9
	v_cmp_lt_i32_e32 vcc, 5, v10
	v_cmp_eq_u32_e64 s[0:1], 3, v10
	v_lshrrev_b32_e32 v11, 2, v9
	v_cvt_f64_f32_e32 v[9:10], v2
	s_or_b64 vcc, s[0:1], vcc
	v_addc_co_u32_e32 v2, vcc, 0, v11, vcc
	v_mul_f64 v[9:10], v[9:10], s[14:15]
	v_cmp_gt_i32_e32 vcc, 31, v15
	v_cndmask_b32_e32 v2, v4, v2, vcc
	v_cmp_ne_u32_e32 vcc, 0, v7
	v_cndmask_b32_e64 v7, 0, 1, vcc
	v_lshl_or_b32 v7, v7, 9, v4
	v_cmp_eq_u32_e32 vcc, s16, v15
	v_cndmask_b32_e32 v2, v2, v7, vcc
	v_lshrrev_b32_e32 v7, 16, v8
	v_and_or_b32 v2, v7, s10, v2
	v_and_or_b32 v7, v10, s18, v9
	v_cmp_ne_u32_e32 vcc, 0, v7
	v_cndmask_b32_e64 v7, 0, 1, vcc
	v_lshrrev_b32_e32 v8, 8, v10
	v_bfe_u32 v9, v10, 20, 11
	v_and_or_b32 v7, v8, s17, v7
	v_sub_u32_e32 v11, 0x3f1, v9
	v_or_b32_e32 v8, 0x1000, v7
	v_med3_i32 v11, v11, 0, 13
	v_lshrrev_b32_e32 v15, v11, v8
	v_lshlrev_b32_e32 v11, v11, v15
	v_cmp_ne_u32_e32 vcc, v11, v8
	v_cndmask_b32_e64 v8, 0, 1, vcc
	v_add_u32_e32 v9, 0xfffffc10, v9
	v_or_b32_e32 v8, v15, v8
	v_lshl_or_b32 v11, v9, 12, v7
	v_cmp_gt_i32_e32 vcc, 1, v9
	v_cndmask_b32_e32 v8, v11, v8, vcc
	v_and_b32_e32 v11, 7, v8
	v_cmp_lt_i32_e32 vcc, 5, v11
	v_cmp_eq_u32_e64 s[0:1], 3, v11
	v_lshrrev_b32_e32 v11, 16, v3
	v_lshrrev_b32_e32 v8, 2, v8
	s_or_b64 vcc, s[0:1], vcc
	s_waitcnt vmcnt(6)
	v_mul_f16_sdwa v15, v11, v12 dst_sel:DWORD dst_unused:UNUSED_PAD src0_sel:DWORD src1_sel:WORD_1
	v_addc_co_u32_e32 v8, vcc, 0, v8, vcc
	v_fma_f16 v15, v3, v12, v15
	v_cmp_gt_i32_e32 vcc, 31, v9
	v_cvt_f32_f16_e32 v15, v15
	v_cndmask_b32_e32 v8, v4, v8, vcc
	v_cmp_ne_u32_e32 vcc, 0, v7
	v_cndmask_b32_e64 v7, 0, 1, vcc
	v_lshl_or_b32 v7, v7, 9, v4
	v_cmp_eq_u32_e32 vcc, s16, v9
	v_cndmask_b32_e32 v9, v8, v7, vcc
	v_cvt_f64_f32_e32 v[7:8], v15
	v_lshrrev_b32_e32 v10, 16, v10
	v_and_or_b32 v9, v10, s10, v9
	v_and_b32_e32 v2, 0xffff, v2
	v_mul_f64 v[7:8], v[7:8], s[14:15]
	v_lshl_or_b32 v2, v9, 16, v2
	v_mov_b32_e32 v9, s2
	v_add_co_u32_e32 v0, vcc, s3, v0
	v_addc_co_u32_e32 v1, vcc, v1, v9, vcc
	global_store_dword v[0:1], v2, off
	v_and_or_b32 v2, v8, s18, v7
	v_cmp_ne_u32_e32 vcc, 0, v2
	v_cndmask_b32_e64 v2, 0, 1, vcc
	v_lshrrev_b32_e32 v7, 8, v8
	v_bfe_u32 v9, v8, 20, 11
	v_and_or_b32 v7, v7, s17, v2
	v_sub_u32_e32 v10, 0x3f1, v9
	v_or_b32_e32 v2, 0x1000, v7
	v_med3_i32 v10, v10, 0, 13
	v_lshrrev_b32_e32 v15, v10, v2
	v_lshlrev_b32_e32 v10, v10, v15
	v_mul_f16_sdwa v3, v3, v12 dst_sel:DWORD dst_unused:UNUSED_PAD src0_sel:DWORD src1_sel:WORD_1
	v_cmp_ne_u32_e32 vcc, v10, v2
	v_fma_f16 v3, v12, v11, -v3
	v_cndmask_b32_e64 v2, 0, 1, vcc
	v_add_u32_e32 v9, 0xfffffc10, v9
	v_cvt_f32_f16_e32 v3, v3
	v_or_b32_e32 v2, v15, v2
	v_lshl_or_b32 v10, v9, 12, v7
	v_cmp_gt_i32_e32 vcc, 1, v9
	v_cndmask_b32_e32 v2, v10, v2, vcc
	v_and_b32_e32 v10, 7, v2
	v_cmp_lt_i32_e32 vcc, 5, v10
	v_cmp_eq_u32_e64 s[0:1], 3, v10
	v_lshrrev_b32_e32 v10, 2, v2
	v_cvt_f64_f32_e32 v[2:3], v3
	s_or_b64 vcc, s[0:1], vcc
	v_addc_co_u32_e32 v10, vcc, 0, v10, vcc
	v_mul_f64 v[2:3], v[2:3], s[14:15]
	v_cmp_gt_i32_e32 vcc, 31, v9
	v_cndmask_b32_e32 v10, v4, v10, vcc
	v_cmp_ne_u32_e32 vcc, 0, v7
	v_cndmask_b32_e64 v7, 0, 1, vcc
	v_lshl_or_b32 v7, v7, 9, v4
	v_cmp_eq_u32_e32 vcc, s16, v9
	v_cndmask_b32_e32 v7, v10, v7, vcc
	v_and_or_b32 v2, v3, s18, v2
	v_lshrrev_b32_e32 v8, 16, v8
	v_cmp_ne_u32_e32 vcc, 0, v2
	v_and_or_b32 v11, v8, s10, v7
	v_cndmask_b32_e64 v2, 0, 1, vcc
	v_lshrrev_b32_e32 v7, 8, v3
	v_bfe_u32 v8, v3, 20, 11
	v_and_or_b32 v2, v7, s17, v2
	v_sub_u32_e32 v9, 0x3f1, v8
	v_or_b32_e32 v7, 0x1000, v2
	v_med3_i32 v9, v9, 0, 13
	v_lshrrev_b32_e32 v10, v9, v7
	v_lshlrev_b32_e32 v9, v9, v10
	v_cmp_ne_u32_e32 vcc, v9, v7
	v_cndmask_b32_e64 v7, 0, 1, vcc
	v_add_u32_e32 v9, 0xfffffc10, v8
	v_or_b32_e32 v7, v10, v7
	v_lshl_or_b32 v8, v9, 12, v2
	v_cmp_gt_i32_e32 vcc, 1, v9
	v_cndmask_b32_e32 v7, v8, v7, vcc
	v_and_b32_e32 v8, 7, v7
	v_cmp_lt_i32_e32 vcc, 5, v8
	v_cmp_eq_u32_e64 s[0:1], 3, v8
	v_lshrrev_b32_e32 v7, 2, v7
	s_or_b64 vcc, s[0:1], vcc
	v_addc_co_u32_e32 v10, vcc, 0, v7, vcc
	ds_read2_b32 v[7:8], v5 offset0:45 offset1:54
	v_cmp_gt_i32_e32 vcc, 31, v9
	v_cndmask_b32_e32 v10, v4, v10, vcc
	v_cmp_ne_u32_e32 vcc, 0, v2
	v_cndmask_b32_e64 v2, 0, 1, vcc
	s_waitcnt lgkmcnt(0)
	v_lshrrev_b32_e32 v12, 16, v7
	s_waitcnt vmcnt(6)
	v_mul_f16_sdwa v15, v12, v13 dst_sel:DWORD dst_unused:UNUSED_PAD src0_sel:DWORD src1_sel:WORD_1
	v_fma_f16 v15, v7, v13, v15
	v_cvt_f32_f16_e32 v15, v15
	v_lshl_or_b32 v2, v2, 9, v4
	v_cmp_eq_u32_e32 vcc, s16, v9
	v_cndmask_b32_e32 v2, v10, v2, vcc
	v_cvt_f64_f32_e32 v[9:10], v15
	v_lshrrev_b32_e32 v3, 16, v3
	v_and_or_b32 v15, v3, s10, v2
	v_add_co_u32_e32 v0, vcc, s3, v0
	v_mul_f64 v[2:3], v[9:10], s[14:15]
	v_mov_b32_e32 v10, s2
	v_and_b32_e32 v11, 0xffff, v11
	v_addc_co_u32_e32 v1, vcc, v1, v10, vcc
	v_lshl_or_b32 v9, v15, 16, v11
	global_store_dword v[0:1], v9, off
	v_mul_f16_sdwa v7, v7, v13 dst_sel:DWORD dst_unused:UNUSED_PAD src0_sel:DWORD src1_sel:WORD_1
	v_and_or_b32 v2, v3, s18, v2
	v_cmp_ne_u32_e32 vcc, 0, v2
	v_cndmask_b32_e64 v2, 0, 1, vcc
	v_lshrrev_b32_e32 v9, 8, v3
	v_bfe_u32 v10, v3, 20, 11
	v_and_or_b32 v2, v9, s17, v2
	v_sub_u32_e32 v11, 0x3f1, v10
	v_or_b32_e32 v9, 0x1000, v2
	v_med3_i32 v11, v11, 0, 13
	v_lshrrev_b32_e32 v15, v11, v9
	v_lshlrev_b32_e32 v11, v11, v15
	v_cmp_ne_u32_e32 vcc, v11, v9
	v_fma_f16 v7, v13, v12, -v7
	v_cndmask_b32_e64 v9, 0, 1, vcc
	v_add_u32_e32 v11, 0xfffffc10, v10
	v_cvt_f32_f16_e32 v7, v7
	v_or_b32_e32 v9, v15, v9
	v_lshl_or_b32 v10, v11, 12, v2
	v_cmp_gt_i32_e32 vcc, 1, v11
	v_cndmask_b32_e32 v9, v10, v9, vcc
	v_and_b32_e32 v10, 7, v9
	v_cmp_lt_i32_e32 vcc, 5, v10
	v_cmp_eq_u32_e64 s[0:1], 3, v10
	v_lshrrev_b32_e32 v12, 2, v9
	v_cvt_f64_f32_e32 v[9:10], v7
	s_or_b64 vcc, s[0:1], vcc
	v_addc_co_u32_e32 v7, vcc, 0, v12, vcc
	v_mul_f64 v[9:10], v[9:10], s[14:15]
	v_cmp_gt_i32_e32 vcc, 31, v11
	v_cndmask_b32_e32 v7, v4, v7, vcc
	v_cmp_ne_u32_e32 vcc, 0, v2
	v_cndmask_b32_e64 v2, 0, 1, vcc
	v_lshl_or_b32 v2, v2, 9, v4
	v_cmp_eq_u32_e32 vcc, s16, v11
	v_cndmask_b32_e32 v2, v7, v2, vcc
	v_lshrrev_b32_e32 v3, 16, v3
	v_and_or_b32 v7, v3, s10, v2
	v_and_or_b32 v2, v10, s18, v9
	v_cmp_ne_u32_e32 vcc, 0, v2
	v_cndmask_b32_e64 v2, 0, 1, vcc
	v_lshrrev_b32_e32 v3, 8, v10
	v_bfe_u32 v9, v10, 20, 11
	v_and_or_b32 v2, v3, s17, v2
	v_sub_u32_e32 v11, 0x3f1, v9
	v_or_b32_e32 v3, 0x1000, v2
	v_med3_i32 v11, v11, 0, 13
	v_lshrrev_b32_e32 v12, v11, v3
	v_lshlrev_b32_e32 v11, v11, v12
	v_cmp_ne_u32_e32 vcc, v11, v3
	v_cndmask_b32_e64 v3, 0, 1, vcc
	v_add_u32_e32 v9, 0xfffffc10, v9
	v_or_b32_e32 v3, v12, v3
	v_lshl_or_b32 v11, v9, 12, v2
	v_cmp_gt_i32_e32 vcc, 1, v9
	v_cndmask_b32_e32 v3, v11, v3, vcc
	v_and_b32_e32 v11, 7, v3
	v_cmp_lt_i32_e32 vcc, 5, v11
	v_cmp_eq_u32_e64 s[0:1], 3, v11
	v_lshrrev_b32_e32 v11, 16, v8
	v_lshrrev_b32_e32 v3, 2, v3
	s_or_b64 vcc, s[0:1], vcc
	s_waitcnt vmcnt(6)
	v_mul_f16_sdwa v12, v11, v14 dst_sel:DWORD dst_unused:UNUSED_PAD src0_sel:DWORD src1_sel:WORD_1
	v_addc_co_u32_e32 v3, vcc, 0, v3, vcc
	v_fma_f16 v12, v8, v14, v12
	v_cmp_gt_i32_e32 vcc, 31, v9
	v_cvt_f32_f16_e32 v12, v12
	v_cndmask_b32_e32 v3, v4, v3, vcc
	v_cmp_ne_u32_e32 vcc, 0, v2
	v_cndmask_b32_e64 v2, 0, 1, vcc
	v_lshl_or_b32 v2, v2, 9, v4
	v_cmp_eq_u32_e32 vcc, s16, v9
	v_cndmask_b32_e32 v9, v3, v2, vcc
	v_cvt_f64_f32_e32 v[2:3], v12
	v_lshrrev_b32_e32 v10, 16, v10
	v_and_or_b32 v9, v10, s10, v9
	v_and_b32_e32 v7, 0xffff, v7
	v_mul_f64 v[2:3], v[2:3], s[14:15]
	v_lshl_or_b32 v7, v9, 16, v7
	v_mov_b32_e32 v9, s2
	v_add_co_u32_e32 v0, vcc, s3, v0
	v_addc_co_u32_e32 v1, vcc, v1, v9, vcc
	global_store_dword v[0:1], v7, off
	v_and_or_b32 v2, v3, s18, v2
	v_cmp_ne_u32_e32 vcc, 0, v2
	v_cndmask_b32_e64 v2, 0, 1, vcc
	v_lshrrev_b32_e32 v7, 8, v3
	v_bfe_u32 v9, v3, 20, 11
	v_and_or_b32 v2, v7, s17, v2
	v_sub_u32_e32 v10, 0x3f1, v9
	v_or_b32_e32 v7, 0x1000, v2
	v_med3_i32 v10, v10, 0, 13
	v_lshrrev_b32_e32 v12, v10, v7
	v_lshlrev_b32_e32 v10, v10, v12
	v_mul_f16_sdwa v8, v8, v14 dst_sel:DWORD dst_unused:UNUSED_PAD src0_sel:DWORD src1_sel:WORD_1
	v_cmp_ne_u32_e32 vcc, v10, v7
	v_fma_f16 v8, v14, v11, -v8
	v_cndmask_b32_e64 v7, 0, 1, vcc
	v_add_u32_e32 v9, 0xfffffc10, v9
	v_cvt_f32_f16_e32 v8, v8
	v_or_b32_e32 v7, v12, v7
	v_lshl_or_b32 v10, v9, 12, v2
	v_cmp_gt_i32_e32 vcc, 1, v9
	v_cndmask_b32_e32 v7, v10, v7, vcc
	v_and_b32_e32 v10, 7, v7
	v_cmp_lt_i32_e32 vcc, 5, v10
	v_cmp_eq_u32_e64 s[0:1], 3, v10
	v_lshrrev_b32_e32 v10, 2, v7
	v_cvt_f64_f32_e32 v[7:8], v8
	s_or_b64 vcc, s[0:1], vcc
	v_addc_co_u32_e32 v10, vcc, 0, v10, vcc
	v_mul_f64 v[7:8], v[7:8], s[14:15]
	v_cmp_gt_i32_e32 vcc, 31, v9
	v_cndmask_b32_e32 v10, v4, v10, vcc
	v_cmp_ne_u32_e32 vcc, 0, v2
	v_cndmask_b32_e64 v2, 0, 1, vcc
	v_lshl_or_b32 v2, v2, 9, v4
	v_cmp_eq_u32_e32 vcc, s16, v9
	v_cndmask_b32_e32 v2, v10, v2, vcc
	v_lshrrev_b32_e32 v3, 16, v3
	v_and_or_b32 v11, v3, s10, v2
	v_and_or_b32 v2, v8, s18, v7
	v_cmp_ne_u32_e32 vcc, 0, v2
	v_cndmask_b32_e64 v2, 0, 1, vcc
	v_lshrrev_b32_e32 v3, 8, v8
	v_and_or_b32 v7, v3, s17, v2
	v_bfe_u32 v3, v8, 20, 11
	v_sub_u32_e32 v9, 0x3f1, v3
	v_or_b32_e32 v2, 0x1000, v7
	v_med3_i32 v9, v9, 0, 13
	v_lshrrev_b32_e32 v10, v9, v2
	v_lshlrev_b32_e32 v9, v9, v10
	v_cmp_ne_u32_e32 vcc, v9, v2
	v_cndmask_b32_e64 v2, 0, 1, vcc
	v_add_u32_e32 v9, 0xfffffc10, v3
	v_or_b32_e32 v2, v10, v2
	v_lshl_or_b32 v3, v9, 12, v7
	v_cmp_gt_i32_e32 vcc, 1, v9
	v_cndmask_b32_e32 v2, v3, v2, vcc
	v_and_b32_e32 v3, 7, v2
	v_cmp_lt_i32_e32 vcc, 5, v3
	v_cmp_eq_u32_e64 s[0:1], 3, v3
	v_lshrrev_b32_e32 v2, 2, v2
	s_or_b64 vcc, s[0:1], vcc
	v_addc_co_u32_e32 v10, vcc, 0, v2, vcc
	ds_read2_b32 v[2:3], v5 offset0:63 offset1:72
	v_cmp_gt_i32_e32 vcc, 31, v9
	v_cndmask_b32_e32 v10, v4, v10, vcc
	v_cmp_ne_u32_e32 vcc, 0, v7
	v_cndmask_b32_e64 v7, 0, 1, vcc
	s_waitcnt lgkmcnt(0)
	v_lshrrev_b32_e32 v12, 16, v2
	s_waitcnt vmcnt(6)
	v_mul_f16_sdwa v13, v12, v6 dst_sel:DWORD dst_unused:UNUSED_PAD src0_sel:DWORD src1_sel:WORD_1
	v_fma_f16 v13, v2, v6, v13
	v_cvt_f32_f16_e32 v13, v13
	v_lshl_or_b32 v7, v7, 9, v4
	v_cmp_eq_u32_e32 vcc, s16, v9
	v_cndmask_b32_e32 v7, v10, v7, vcc
	v_cvt_f64_f32_e32 v[9:10], v13
	v_lshrrev_b32_e32 v8, 16, v8
	v_and_or_b32 v13, v8, s10, v7
	v_and_b32_e32 v11, 0xffff, v11
	v_mul_f64 v[7:8], v[9:10], s[14:15]
	global_load_dword v10, v21, s[6:7] offset:288
	v_lshl_or_b32 v9, v13, 16, v11
	v_mov_b32_e32 v11, s2
	v_add_co_u32_e32 v0, vcc, s3, v0
	v_addc_co_u32_e32 v1, vcc, v1, v11, vcc
	v_and_or_b32 v7, v8, s18, v7
	v_cmp_ne_u32_e32 vcc, 0, v7
	global_store_dword v[0:1], v9, off
	v_cndmask_b32_e64 v7, 0, 1, vcc
	v_lshrrev_b32_e32 v9, 8, v8
	v_bfe_u32 v11, v8, 20, 11
	v_and_or_b32 v9, v9, s17, v7
	v_sub_u32_e32 v13, 0x3f1, v11
	v_or_b32_e32 v7, 0x1000, v9
	v_med3_i32 v13, v13, 0, 13
	v_lshrrev_b32_e32 v14, v13, v7
	v_mul_f16_sdwa v2, v2, v6 dst_sel:DWORD dst_unused:UNUSED_PAD src0_sel:DWORD src1_sel:WORD_1
	v_lshlrev_b32_e32 v13, v13, v14
	v_fma_f16 v2, v6, v12, -v2
	v_cmp_ne_u32_e32 vcc, v13, v7
	v_cvt_f32_f16_e32 v2, v2
	v_cndmask_b32_e64 v7, 0, 1, vcc
	v_add_u32_e32 v11, 0xfffffc10, v11
	v_or_b32_e32 v7, v14, v7
	v_lshl_or_b32 v13, v11, 12, v9
	v_cmp_gt_i32_e32 vcc, 1, v11
	v_cndmask_b32_e32 v7, v13, v7, vcc
	v_and_b32_e32 v13, 7, v7
	v_lshrrev_b32_e32 v12, 2, v7
	v_cvt_f64_f32_e32 v[6:7], v2
	v_cmp_lt_i32_e32 vcc, 5, v13
	v_cmp_eq_u32_e64 s[0:1], 3, v13
	s_or_b64 vcc, s[0:1], vcc
	v_mul_f64 v[6:7], v[6:7], s[14:15]
	v_addc_co_u32_e32 v2, vcc, 0, v12, vcc
	v_cmp_gt_i32_e32 vcc, 31, v11
	v_cndmask_b32_e32 v2, v4, v2, vcc
	v_cmp_ne_u32_e32 vcc, 0, v9
	v_cndmask_b32_e64 v9, 0, 1, vcc
	v_lshl_or_b32 v9, v9, 9, v4
	v_cmp_eq_u32_e32 vcc, s16, v11
	v_and_or_b32 v6, v7, s18, v6
	v_cndmask_b32_e32 v2, v2, v9, vcc
	v_lshrrev_b32_e32 v8, 16, v8
	v_cmp_ne_u32_e32 vcc, 0, v6
	v_and_or_b32 v2, v8, s10, v2
	v_cndmask_b32_e64 v6, 0, 1, vcc
	v_lshrrev_b32_e32 v8, 8, v7
	v_bfe_u32 v9, v7, 20, 11
	v_and_or_b32 v6, v8, s17, v6
	v_sub_u32_e32 v11, 0x3f1, v9
	v_or_b32_e32 v8, 0x1000, v6
	v_med3_i32 v11, v11, 0, 13
	v_lshrrev_b32_e32 v12, v11, v8
	v_lshlrev_b32_e32 v11, v11, v12
	v_cmp_ne_u32_e32 vcc, v11, v8
	v_cndmask_b32_e64 v8, 0, 1, vcc
	v_or_b32_e32 v8, v12, v8
	global_load_dword v12, v21, s[6:7] offset:324
	global_load_dword v13, v21, s[6:7] offset:360
	;; [unrolled: 1-line block ×3, first 2 shown]
	v_add_u32_e32 v9, 0xfffffc10, v9
	v_lshl_or_b32 v11, v9, 12, v6
	v_cmp_gt_i32_e32 vcc, 1, v9
	v_cndmask_b32_e32 v8, v11, v8, vcc
	v_and_b32_e32 v11, 7, v8
	v_cmp_lt_i32_e32 vcc, 5, v11
	v_cmp_eq_u32_e64 s[0:1], 3, v11
	v_lshrrev_b32_e32 v11, 16, v3
	v_lshrrev_b32_e32 v8, 2, v8
	s_or_b64 vcc, s[0:1], vcc
	v_addc_co_u32_e32 v8, vcc, 0, v8, vcc
	v_cmp_gt_i32_e32 vcc, 31, v9
	v_cndmask_b32_e32 v8, v4, v8, vcc
	v_cmp_ne_u32_e32 vcc, 0, v6
	v_cndmask_b32_e64 v6, 0, 1, vcc
	v_lshl_or_b32 v6, v6, 9, v4
	v_cmp_eq_u32_e32 vcc, s16, v9
	s_waitcnt vmcnt(4)
	v_mul_f16_sdwa v15, v11, v10 dst_sel:DWORD dst_unused:UNUSED_PAD src0_sel:DWORD src1_sel:WORD_1
	v_fma_f16 v15, v3, v10, v15
	v_cvt_f32_f16_e32 v15, v15
	v_cndmask_b32_e32 v6, v8, v6, vcc
	v_lshrrev_b32_e32 v7, 16, v7
	v_and_b32_e32 v2, 0xffff, v2
	v_cvt_f64_f32_e32 v[8:9], v15
	v_and_or_b32 v15, v7, s10, v6
	v_add_co_u32_e32 v0, vcc, s3, v0
	v_mul_f64 v[6:7], v[8:9], s[14:15]
	v_mov_b32_e32 v8, s2
	v_lshl_or_b32 v2, v15, 16, v2
	v_addc_co_u32_e32 v1, vcc, v1, v8, vcc
	global_store_dword v[0:1], v2, off
	v_mul_f16_sdwa v3, v3, v10 dst_sel:DWORD dst_unused:UNUSED_PAD src0_sel:DWORD src1_sel:WORD_1
	v_fma_f16 v3, v10, v11, -v3
	v_and_or_b32 v2, v7, s18, v6
	v_cmp_ne_u32_e32 vcc, 0, v2
	v_cndmask_b32_e64 v2, 0, 1, vcc
	v_lshrrev_b32_e32 v6, 8, v7
	v_bfe_u32 v8, v7, 20, 11
	v_and_or_b32 v6, v6, s17, v2
	v_sub_u32_e32 v9, 0x3f1, v8
	v_or_b32_e32 v2, 0x1000, v6
	v_med3_i32 v9, v9, 0, 13
	v_lshrrev_b32_e32 v15, v9, v2
	v_lshlrev_b32_e32 v9, v9, v15
	v_cmp_ne_u32_e32 vcc, v9, v2
	v_cndmask_b32_e64 v2, 0, 1, vcc
	v_add_u32_e32 v8, 0xfffffc10, v8
	v_cvt_f32_f16_e32 v3, v3
	v_or_b32_e32 v2, v15, v2
	v_lshl_or_b32 v9, v8, 12, v6
	v_cmp_gt_i32_e32 vcc, 1, v8
	v_cndmask_b32_e32 v2, v9, v2, vcc
	v_and_b32_e32 v9, 7, v2
	v_cmp_lt_i32_e32 vcc, 5, v9
	v_cmp_eq_u32_e64 s[0:1], 3, v9
	v_lshrrev_b32_e32 v9, 2, v2
	v_cvt_f64_f32_e32 v[2:3], v3
	s_or_b64 vcc, s[0:1], vcc
	v_addc_co_u32_e32 v9, vcc, 0, v9, vcc
	v_mul_f64 v[2:3], v[2:3], s[14:15]
	v_cmp_gt_i32_e32 vcc, 31, v8
	v_cndmask_b32_e32 v9, v4, v9, vcc
	v_cmp_ne_u32_e32 vcc, 0, v6
	v_cndmask_b32_e64 v6, 0, 1, vcc
	v_lshl_or_b32 v6, v6, 9, v4
	v_cmp_eq_u32_e32 vcc, s16, v8
	v_cndmask_b32_e32 v6, v9, v6, vcc
	v_and_or_b32 v2, v3, s18, v2
	v_lshrrev_b32_e32 v7, 16, v7
	v_cmp_ne_u32_e32 vcc, 0, v2
	v_and_or_b32 v10, v7, s10, v6
	v_cndmask_b32_e64 v2, 0, 1, vcc
	v_lshrrev_b32_e32 v6, 8, v3
	v_bfe_u32 v7, v3, 20, 11
	v_and_or_b32 v2, v6, s17, v2
	v_sub_u32_e32 v8, 0x3f1, v7
	v_or_b32_e32 v6, 0x1000, v2
	v_med3_i32 v8, v8, 0, 13
	v_lshrrev_b32_e32 v9, v8, v6
	v_lshlrev_b32_e32 v8, v8, v9
	v_cmp_ne_u32_e32 vcc, v8, v6
	v_cndmask_b32_e64 v6, 0, 1, vcc
	v_add_u32_e32 v8, 0xfffffc10, v7
	v_or_b32_e32 v6, v9, v6
	v_lshl_or_b32 v7, v8, 12, v2
	v_cmp_gt_i32_e32 vcc, 1, v8
	v_cndmask_b32_e32 v6, v7, v6, vcc
	v_and_b32_e32 v7, 7, v6
	v_cmp_lt_i32_e32 vcc, 5, v7
	v_cmp_eq_u32_e64 s[0:1], 3, v7
	v_lshrrev_b32_e32 v6, 2, v6
	s_or_b64 vcc, s[0:1], vcc
	v_addc_co_u32_e32 v9, vcc, 0, v6, vcc
	ds_read2_b32 v[6:7], v5 offset0:81 offset1:90
	v_cmp_gt_i32_e32 vcc, 31, v8
	v_cndmask_b32_e32 v9, v4, v9, vcc
	v_cmp_ne_u32_e32 vcc, 0, v2
	v_cndmask_b32_e64 v2, 0, 1, vcc
	s_waitcnt lgkmcnt(0)
	v_lshrrev_b32_e32 v11, 16, v6
	s_waitcnt vmcnt(3)
	v_mul_f16_sdwa v15, v11, v12 dst_sel:DWORD dst_unused:UNUSED_PAD src0_sel:DWORD src1_sel:WORD_1
	v_fma_f16 v15, v6, v12, v15
	v_cvt_f32_f16_e32 v15, v15
	v_lshl_or_b32 v2, v2, 9, v4
	v_cmp_eq_u32_e32 vcc, s16, v8
	v_cndmask_b32_e32 v2, v9, v2, vcc
	v_cvt_f64_f32_e32 v[8:9], v15
	v_lshrrev_b32_e32 v3, 16, v3
	v_and_or_b32 v15, v3, s10, v2
	v_add_co_u32_e32 v0, vcc, s3, v0
	v_mul_f64 v[2:3], v[8:9], s[14:15]
	v_mov_b32_e32 v9, s2
	v_and_b32_e32 v10, 0xffff, v10
	v_addc_co_u32_e32 v1, vcc, v1, v9, vcc
	v_lshl_or_b32 v8, v15, 16, v10
	global_store_dword v[0:1], v8, off
	v_mul_f16_sdwa v6, v6, v12 dst_sel:DWORD dst_unused:UNUSED_PAD src0_sel:DWORD src1_sel:WORD_1
	v_and_or_b32 v2, v3, s18, v2
	v_cmp_ne_u32_e32 vcc, 0, v2
	v_cndmask_b32_e64 v2, 0, 1, vcc
	v_lshrrev_b32_e32 v8, 8, v3
	v_bfe_u32 v9, v3, 20, 11
	v_and_or_b32 v2, v8, s17, v2
	v_sub_u32_e32 v10, 0x3f1, v9
	v_or_b32_e32 v8, 0x1000, v2
	v_med3_i32 v10, v10, 0, 13
	v_lshrrev_b32_e32 v15, v10, v8
	v_lshlrev_b32_e32 v10, v10, v15
	v_cmp_ne_u32_e32 vcc, v10, v8
	v_fma_f16 v6, v12, v11, -v6
	v_cndmask_b32_e64 v8, 0, 1, vcc
	v_add_u32_e32 v10, 0xfffffc10, v9
	v_cvt_f32_f16_e32 v6, v6
	v_or_b32_e32 v8, v15, v8
	v_lshl_or_b32 v9, v10, 12, v2
	v_cmp_gt_i32_e32 vcc, 1, v10
	v_cndmask_b32_e32 v8, v9, v8, vcc
	v_and_b32_e32 v9, 7, v8
	v_cmp_lt_i32_e32 vcc, 5, v9
	v_cmp_eq_u32_e64 s[0:1], 3, v9
	v_lshrrev_b32_e32 v11, 2, v8
	v_cvt_f64_f32_e32 v[8:9], v6
	s_or_b64 vcc, s[0:1], vcc
	v_addc_co_u32_e32 v6, vcc, 0, v11, vcc
	v_mul_f64 v[8:9], v[8:9], s[14:15]
	v_cmp_gt_i32_e32 vcc, 31, v10
	v_cndmask_b32_e32 v6, v4, v6, vcc
	v_cmp_ne_u32_e32 vcc, 0, v2
	v_cndmask_b32_e64 v2, 0, 1, vcc
	v_lshl_or_b32 v2, v2, 9, v4
	v_cmp_eq_u32_e32 vcc, s16, v10
	v_cndmask_b32_e32 v2, v6, v2, vcc
	v_lshrrev_b32_e32 v3, 16, v3
	v_and_or_b32 v6, v3, s10, v2
	v_and_or_b32 v2, v9, s18, v8
	v_cmp_ne_u32_e32 vcc, 0, v2
	v_cndmask_b32_e64 v2, 0, 1, vcc
	v_lshrrev_b32_e32 v3, 8, v9
	v_bfe_u32 v8, v9, 20, 11
	v_and_or_b32 v2, v3, s17, v2
	v_sub_u32_e32 v10, 0x3f1, v8
	v_or_b32_e32 v3, 0x1000, v2
	v_med3_i32 v10, v10, 0, 13
	v_lshrrev_b32_e32 v11, v10, v3
	v_lshlrev_b32_e32 v10, v10, v11
	v_cmp_ne_u32_e32 vcc, v10, v3
	v_cndmask_b32_e64 v3, 0, 1, vcc
	v_add_u32_e32 v8, 0xfffffc10, v8
	v_or_b32_e32 v3, v11, v3
	v_lshl_or_b32 v10, v8, 12, v2
	v_cmp_gt_i32_e32 vcc, 1, v8
	v_cndmask_b32_e32 v3, v10, v3, vcc
	v_and_b32_e32 v10, 7, v3
	v_cmp_lt_i32_e32 vcc, 5, v10
	v_cmp_eq_u32_e64 s[0:1], 3, v10
	v_lshrrev_b32_e32 v10, 16, v7
	v_lshrrev_b32_e32 v3, 2, v3
	s_or_b64 vcc, s[0:1], vcc
	s_waitcnt vmcnt(3)
	v_mul_f16_sdwa v11, v10, v13 dst_sel:DWORD dst_unused:UNUSED_PAD src0_sel:DWORD src1_sel:WORD_1
	v_addc_co_u32_e32 v3, vcc, 0, v3, vcc
	v_fma_f16 v11, v7, v13, v11
	v_cmp_gt_i32_e32 vcc, 31, v8
	v_cvt_f32_f16_e32 v11, v11
	v_cndmask_b32_e32 v3, v4, v3, vcc
	v_cmp_ne_u32_e32 vcc, 0, v2
	v_cndmask_b32_e64 v2, 0, 1, vcc
	v_lshl_or_b32 v2, v2, 9, v4
	v_cmp_eq_u32_e32 vcc, s16, v8
	v_cndmask_b32_e32 v8, v3, v2, vcc
	v_cvt_f64_f32_e32 v[2:3], v11
	v_lshrrev_b32_e32 v9, 16, v9
	v_and_or_b32 v8, v9, s10, v8
	v_and_b32_e32 v6, 0xffff, v6
	v_mul_f64 v[2:3], v[2:3], s[14:15]
	v_lshl_or_b32 v6, v8, 16, v6
	v_mov_b32_e32 v8, s2
	v_add_co_u32_e32 v0, vcc, s3, v0
	v_addc_co_u32_e32 v1, vcc, v1, v8, vcc
	global_store_dword v[0:1], v6, off
	v_and_or_b32 v2, v3, s18, v2
	v_cmp_ne_u32_e32 vcc, 0, v2
	v_cndmask_b32_e64 v2, 0, 1, vcc
	v_lshrrev_b32_e32 v6, 8, v3
	v_bfe_u32 v8, v3, 20, 11
	v_and_or_b32 v2, v6, s17, v2
	v_sub_u32_e32 v9, 0x3f1, v8
	v_or_b32_e32 v6, 0x1000, v2
	v_med3_i32 v9, v9, 0, 13
	v_lshrrev_b32_e32 v11, v9, v6
	v_lshlrev_b32_e32 v9, v9, v11
	v_mul_f16_sdwa v7, v7, v13 dst_sel:DWORD dst_unused:UNUSED_PAD src0_sel:DWORD src1_sel:WORD_1
	v_cmp_ne_u32_e32 vcc, v9, v6
	v_fma_f16 v7, v13, v10, -v7
	v_cndmask_b32_e64 v6, 0, 1, vcc
	v_add_u32_e32 v8, 0xfffffc10, v8
	v_cvt_f32_f16_e32 v7, v7
	v_or_b32_e32 v6, v11, v6
	v_lshl_or_b32 v9, v8, 12, v2
	v_cmp_gt_i32_e32 vcc, 1, v8
	v_cndmask_b32_e32 v6, v9, v6, vcc
	v_and_b32_e32 v9, 7, v6
	v_cmp_lt_i32_e32 vcc, 5, v9
	v_cmp_eq_u32_e64 s[0:1], 3, v9
	v_lshrrev_b32_e32 v9, 2, v6
	v_cvt_f64_f32_e32 v[6:7], v7
	s_or_b64 vcc, s[0:1], vcc
	v_addc_co_u32_e32 v9, vcc, 0, v9, vcc
	v_mul_f64 v[6:7], v[6:7], s[14:15]
	v_cmp_gt_i32_e32 vcc, 31, v8
	v_cndmask_b32_e32 v9, v4, v9, vcc
	v_cmp_ne_u32_e32 vcc, 0, v2
	v_cndmask_b32_e64 v2, 0, 1, vcc
	v_lshl_or_b32 v2, v2, 9, v4
	v_cmp_eq_u32_e32 vcc, s16, v8
	v_cndmask_b32_e32 v2, v9, v2, vcc
	v_lshrrev_b32_e32 v3, 16, v3
	v_and_or_b32 v8, v3, s10, v2
	v_and_or_b32 v2, v7, s18, v6
	v_cmp_ne_u32_e32 vcc, 0, v2
	v_cndmask_b32_e64 v2, 0, 1, vcc
	v_lshrrev_b32_e32 v3, 8, v7
	v_and_or_b32 v6, v3, s17, v2
	v_bfe_u32 v3, v7, 20, 11
	v_sub_u32_e32 v9, 0x3f1, v3
	v_or_b32_e32 v2, 0x1000, v6
	v_med3_i32 v9, v9, 0, 13
	v_lshrrev_b32_e32 v10, v9, v2
	v_lshlrev_b32_e32 v9, v9, v10
	v_cmp_ne_u32_e32 vcc, v9, v2
	v_cndmask_b32_e64 v2, 0, 1, vcc
	v_add_u32_e32 v9, 0xfffffc10, v3
	v_or_b32_e32 v2, v10, v2
	v_lshl_or_b32 v3, v9, 12, v6
	v_cmp_gt_i32_e32 vcc, 1, v9
	v_cndmask_b32_e32 v2, v3, v2, vcc
	v_and_b32_e32 v3, 7, v2
	v_cmp_lt_i32_e32 vcc, 5, v3
	v_cmp_eq_u32_e64 s[0:1], 3, v3
	v_lshrrev_b32_e32 v2, 2, v2
	s_or_b64 vcc, s[0:1], vcc
	v_addc_co_u32_e32 v10, vcc, 0, v2, vcc
	ds_read2_b32 v[2:3], v5 offset0:99 offset1:108
	v_cmp_gt_i32_e32 vcc, 31, v9
	v_cndmask_b32_e32 v5, v4, v10, vcc
	v_cmp_ne_u32_e32 vcc, 0, v6
	v_cndmask_b32_e64 v6, 0, 1, vcc
	s_waitcnt lgkmcnt(0)
	v_lshrrev_b32_e32 v10, 16, v2
	s_waitcnt vmcnt(3)
	v_mul_f16_sdwa v11, v10, v14 dst_sel:DWORD dst_unused:UNUSED_PAD src0_sel:DWORD src1_sel:WORD_1
	v_fma_f16 v11, v2, v14, v11
	v_cvt_f32_f16_e32 v11, v11
	v_lshl_or_b32 v6, v6, 9, v4
	v_cmp_eq_u32_e32 vcc, s16, v9
	v_cndmask_b32_e32 v9, v5, v6, vcc
	v_cvt_f64_f32_e32 v[5:6], v11
	v_lshrrev_b32_e32 v7, 16, v7
	v_and_or_b32 v7, v7, s10, v9
	v_and_b32_e32 v8, 0xffff, v8
	v_mul_f64 v[5:6], v[5:6], s[14:15]
	v_lshl_or_b32 v7, v7, 16, v8
	v_mov_b32_e32 v8, s2
	v_add_co_u32_e32 v0, vcc, s3, v0
	v_addc_co_u32_e32 v1, vcc, v1, v8, vcc
	global_store_dword v[0:1], v7, off
	v_and_or_b32 v5, v6, s18, v5
	v_cmp_ne_u32_e32 vcc, 0, v5
	v_cndmask_b32_e64 v5, 0, 1, vcc
	v_lshrrev_b32_e32 v7, 8, v6
	v_bfe_u32 v8, v6, 20, 11
	v_and_or_b32 v5, v7, s17, v5
	v_sub_u32_e32 v9, 0x3f1, v8
	v_or_b32_e32 v7, 0x1000, v5
	v_med3_i32 v9, v9, 0, 13
	v_lshrrev_b32_e32 v11, v9, v7
	v_lshlrev_b32_e32 v9, v9, v11
	v_mul_f16_sdwa v2, v2, v14 dst_sel:DWORD dst_unused:UNUSED_PAD src0_sel:DWORD src1_sel:WORD_1
	v_cmp_ne_u32_e32 vcc, v9, v7
	v_fma_f16 v2, v14, v10, -v2
	v_cndmask_b32_e64 v7, 0, 1, vcc
	v_add_u32_e32 v9, 0xfffffc10, v8
	v_cvt_f32_f16_e32 v2, v2
	v_or_b32_e32 v7, v11, v7
	v_lshl_or_b32 v8, v9, 12, v5
	v_cmp_gt_i32_e32 vcc, 1, v9
	v_cndmask_b32_e32 v7, v8, v7, vcc
	v_and_b32_e32 v8, 7, v7
	v_cmp_lt_i32_e32 vcc, 5, v8
	v_cmp_eq_u32_e64 s[0:1], 3, v8
	v_lshrrev_b32_e32 v10, 2, v7
	v_cvt_f64_f32_e32 v[7:8], v2
	s_or_b64 vcc, s[0:1], vcc
	v_addc_co_u32_e32 v2, vcc, 0, v10, vcc
	v_mul_f64 v[7:8], v[7:8], s[14:15]
	v_cmp_gt_i32_e32 vcc, 31, v9
	v_cndmask_b32_e32 v2, v4, v2, vcc
	v_cmp_ne_u32_e32 vcc, 0, v5
	v_cndmask_b32_e64 v5, 0, 1, vcc
	v_lshl_or_b32 v5, v5, 9, v4
	v_cmp_eq_u32_e32 vcc, s16, v9
	v_cndmask_b32_e32 v2, v2, v5, vcc
	v_lshrrev_b32_e32 v5, 16, v6
	v_and_or_b32 v2, v5, s10, v2
	v_and_or_b32 v5, v8, s18, v7
	v_cmp_ne_u32_e32 vcc, 0, v5
	v_cndmask_b32_e64 v5, 0, 1, vcc
	v_lshrrev_b32_e32 v6, 8, v8
	v_bfe_u32 v7, v8, 20, 11
	v_and_or_b32 v5, v6, s17, v5
	v_sub_u32_e32 v9, 0x3f1, v7
	v_or_b32_e32 v6, 0x1000, v5
	v_med3_i32 v9, v9, 0, 13
	v_lshrrev_b32_e32 v10, v9, v6
	v_lshlrev_b32_e32 v9, v9, v10
	v_cmp_ne_u32_e32 vcc, v9, v6
	v_cndmask_b32_e64 v6, 0, 1, vcc
	v_add_u32_e32 v7, 0xfffffc10, v7
	v_or_b32_e32 v6, v10, v6
	v_lshl_or_b32 v9, v7, 12, v5
	v_cmp_gt_i32_e32 vcc, 1, v7
	v_cndmask_b32_e32 v6, v9, v6, vcc
	v_and_b32_e32 v9, 7, v6
	v_cmp_lt_i32_e32 vcc, 5, v9
	v_cmp_eq_u32_e64 s[0:1], 3, v9
	v_lshrrev_b32_e32 v6, 2, v6
	s_or_b64 vcc, s[0:1], vcc
	v_addc_co_u32_e32 v6, vcc, 0, v6, vcc
	v_cmp_gt_i32_e32 vcc, 31, v7
	v_cndmask_b32_e32 v6, v4, v6, vcc
	v_cmp_ne_u32_e32 vcc, 0, v5
	v_cndmask_b32_e64 v5, 0, 1, vcc
	v_lshl_or_b32 v5, v5, 9, v4
	v_cmp_eq_u32_e32 vcc, s16, v7
	v_cndmask_b32_e32 v5, v6, v5, vcc
	v_lshrrev_b32_e32 v6, 16, v8
	v_and_or_b32 v5, v6, s10, v5
	v_and_b32_e32 v2, 0xffff, v2
	v_lshl_or_b32 v2, v5, 16, v2
	v_mov_b32_e32 v5, s2
	v_add_co_u32_e32 v0, vcc, s3, v0
	v_addc_co_u32_e32 v1, vcc, v1, v5, vcc
	global_store_dword v[0:1], v2, off
	global_load_dword v2, v21, s[6:7] offset:432
	v_lshrrev_b32_e32 v7, 16, v3
	s_waitcnt vmcnt(0)
	v_mul_f16_sdwa v5, v7, v2 dst_sel:DWORD dst_unused:UNUSED_PAD src0_sel:DWORD src1_sel:WORD_1
	v_fma_f16 v5, v3, v2, v5
	v_cvt_f32_f16_e32 v5, v5
	v_mul_f16_sdwa v3, v3, v2 dst_sel:DWORD dst_unused:UNUSED_PAD src0_sel:DWORD src1_sel:WORD_1
	v_fma_f16 v2, v2, v7, -v3
	v_cvt_f32_f16_e32 v2, v2
	v_cvt_f64_f32_e32 v[5:6], v5
	v_cvt_f64_f32_e32 v[2:3], v2
	v_mul_f64 v[5:6], v[5:6], s[14:15]
	v_mul_f64 v[2:3], v[2:3], s[14:15]
	v_and_or_b32 v5, v6, s18, v5
	v_cmp_ne_u32_e32 vcc, 0, v5
	v_cndmask_b32_e64 v5, 0, 1, vcc
	v_lshrrev_b32_e32 v8, 8, v6
	v_bfe_u32 v9, v6, 20, 11
	v_and_or_b32 v5, v8, s17, v5
	v_sub_u32_e32 v10, 0x3f1, v9
	v_or_b32_e32 v8, 0x1000, v5
	v_med3_i32 v10, v10, 0, 13
	v_lshrrev_b32_e32 v11, v10, v8
	v_lshlrev_b32_e32 v10, v10, v11
	v_cmp_ne_u32_e32 vcc, v10, v8
	v_cndmask_b32_e64 v8, 0, 1, vcc
	v_add_u32_e32 v9, 0xfffffc10, v9
	v_or_b32_e32 v8, v11, v8
	v_lshl_or_b32 v10, v9, 12, v5
	v_cmp_gt_i32_e32 vcc, 1, v9
	v_cndmask_b32_e32 v8, v10, v8, vcc
	v_and_b32_e32 v10, 7, v8
	v_cmp_lt_i32_e32 vcc, 5, v10
	v_cmp_eq_u32_e64 s[0:1], 3, v10
	v_lshrrev_b32_e32 v7, 2, v8
	s_or_b64 vcc, s[0:1], vcc
	v_addc_co_u32_e32 v7, vcc, 0, v7, vcc
	v_cmp_gt_i32_e32 vcc, 31, v9
	v_cndmask_b32_e32 v7, v4, v7, vcc
	v_cmp_ne_u32_e32 vcc, 0, v5
	v_cndmask_b32_e64 v5, 0, 1, vcc
	v_lshl_or_b32 v5, v5, 9, v4
	v_cmp_eq_u32_e32 vcc, s16, v9
	v_and_or_b32 v2, v3, s18, v2
	v_cndmask_b32_e32 v5, v7, v5, vcc
	v_lshrrev_b32_e32 v6, 16, v6
	v_cmp_ne_u32_e32 vcc, 0, v2
	v_and_or_b32 v5, v6, s10, v5
	v_cndmask_b32_e64 v2, 0, 1, vcc
	v_lshrrev_b32_e32 v6, 8, v3
	v_bfe_u32 v7, v3, 20, 11
	v_and_or_b32 v2, v6, s17, v2
	v_sub_u32_e32 v8, 0x3f1, v7
	v_or_b32_e32 v6, 0x1000, v2
	v_med3_i32 v8, v8, 0, 13
	v_lshrrev_b32_e32 v9, v8, v6
	v_lshlrev_b32_e32 v8, v8, v9
	v_cmp_ne_u32_e32 vcc, v8, v6
	v_cndmask_b32_e64 v6, 0, 1, vcc
	v_add_u32_e32 v7, 0xfffffc10, v7
	v_or_b32_e32 v6, v9, v6
	v_lshl_or_b32 v8, v7, 12, v2
	v_cmp_gt_i32_e32 vcc, 1, v7
	v_cndmask_b32_e32 v6, v8, v6, vcc
	v_and_b32_e32 v8, 7, v6
	v_cmp_lt_i32_e32 vcc, 5, v8
	v_cmp_eq_u32_e64 s[0:1], 3, v8
	v_lshrrev_b32_e32 v6, 2, v6
	s_or_b64 vcc, s[0:1], vcc
	v_addc_co_u32_e32 v6, vcc, 0, v6, vcc
	v_cmp_gt_i32_e32 vcc, 31, v7
	v_cndmask_b32_e32 v6, v4, v6, vcc
	v_cmp_ne_u32_e32 vcc, 0, v2
	v_cndmask_b32_e64 v2, 0, 1, vcc
	v_lshl_or_b32 v2, v2, 9, v4
	v_cmp_eq_u32_e32 vcc, s16, v7
	v_cndmask_b32_e32 v2, v6, v2, vcc
	v_lshrrev_b32_e32 v3, 16, v3
	v_and_or_b32 v2, v3, s10, v2
	v_and_b32_e32 v3, 0xffff, v5
	v_lshl_or_b32 v2, v2, 16, v3
	v_mov_b32_e32 v3, s2
	v_add_co_u32_e32 v0, vcc, s3, v0
	v_addc_co_u32_e32 v1, vcc, v1, v3, vcc
	global_store_dword v[0:1], v2, off
.LBB0_15:
	s_endpgm
	.section	.rodata,"a",@progbits
	.p2align	6, 0x0
	.amdhsa_kernel bluestein_single_back_len117_dim1_half_op_CI_CI
		.amdhsa_group_segment_fixed_size 1872
		.amdhsa_private_segment_fixed_size 0
		.amdhsa_kernarg_size 104
		.amdhsa_user_sgpr_count 6
		.amdhsa_user_sgpr_private_segment_buffer 1
		.amdhsa_user_sgpr_dispatch_ptr 0
		.amdhsa_user_sgpr_queue_ptr 0
		.amdhsa_user_sgpr_kernarg_segment_ptr 1
		.amdhsa_user_sgpr_dispatch_id 0
		.amdhsa_user_sgpr_flat_scratch_init 0
		.amdhsa_user_sgpr_private_segment_size 0
		.amdhsa_uses_dynamic_stack 0
		.amdhsa_system_sgpr_private_segment_wavefront_offset 0
		.amdhsa_system_sgpr_workgroup_id_x 1
		.amdhsa_system_sgpr_workgroup_id_y 0
		.amdhsa_system_sgpr_workgroup_id_z 0
		.amdhsa_system_sgpr_workgroup_info 0
		.amdhsa_system_vgpr_workitem_id 0
		.amdhsa_next_free_vgpr 124
		.amdhsa_next_free_sgpr 32
		.amdhsa_reserve_vcc 1
		.amdhsa_reserve_flat_scratch 0
		.amdhsa_float_round_mode_32 0
		.amdhsa_float_round_mode_16_64 0
		.amdhsa_float_denorm_mode_32 3
		.amdhsa_float_denorm_mode_16_64 3
		.amdhsa_dx10_clamp 1
		.amdhsa_ieee_mode 1
		.amdhsa_fp16_overflow 0
		.amdhsa_exception_fp_ieee_invalid_op 0
		.amdhsa_exception_fp_denorm_src 0
		.amdhsa_exception_fp_ieee_div_zero 0
		.amdhsa_exception_fp_ieee_overflow 0
		.amdhsa_exception_fp_ieee_underflow 0
		.amdhsa_exception_fp_ieee_inexact 0
		.amdhsa_exception_int_div_zero 0
	.end_amdhsa_kernel
	.text
.Lfunc_end0:
	.size	bluestein_single_back_len117_dim1_half_op_CI_CI, .Lfunc_end0-bluestein_single_back_len117_dim1_half_op_CI_CI
                                        ; -- End function
	.section	.AMDGPU.csdata,"",@progbits
; Kernel info:
; codeLenInByte = 17240
; NumSgprs: 36
; NumVgprs: 124
; ScratchSize: 0
; MemoryBound: 0
; FloatMode: 240
; IeeeMode: 1
; LDSByteSize: 1872 bytes/workgroup (compile time only)
; SGPRBlocks: 4
; VGPRBlocks: 30
; NumSGPRsForWavesPerEU: 36
; NumVGPRsForWavesPerEU: 124
; Occupancy: 2
; WaveLimiterHint : 1
; COMPUTE_PGM_RSRC2:SCRATCH_EN: 0
; COMPUTE_PGM_RSRC2:USER_SGPR: 6
; COMPUTE_PGM_RSRC2:TRAP_HANDLER: 0
; COMPUTE_PGM_RSRC2:TGID_X_EN: 1
; COMPUTE_PGM_RSRC2:TGID_Y_EN: 0
; COMPUTE_PGM_RSRC2:TGID_Z_EN: 0
; COMPUTE_PGM_RSRC2:TIDIG_COMP_CNT: 0
	.type	__hip_cuid_2b359b4194732a1,@object ; @__hip_cuid_2b359b4194732a1
	.section	.bss,"aw",@nobits
	.globl	__hip_cuid_2b359b4194732a1
__hip_cuid_2b359b4194732a1:
	.byte	0                               ; 0x0
	.size	__hip_cuid_2b359b4194732a1, 1

	.ident	"AMD clang version 19.0.0git (https://github.com/RadeonOpenCompute/llvm-project roc-6.4.0 25133 c7fe45cf4b819c5991fe208aaa96edf142730f1d)"
	.section	".note.GNU-stack","",@progbits
	.addrsig
	.addrsig_sym __hip_cuid_2b359b4194732a1
	.amdgpu_metadata
---
amdhsa.kernels:
  - .args:
      - .actual_access:  read_only
        .address_space:  global
        .offset:         0
        .size:           8
        .value_kind:     global_buffer
      - .actual_access:  read_only
        .address_space:  global
        .offset:         8
        .size:           8
        .value_kind:     global_buffer
      - .actual_access:  read_only
        .address_space:  global
        .offset:         16
        .size:           8
        .value_kind:     global_buffer
      - .actual_access:  read_only
        .address_space:  global
        .offset:         24
        .size:           8
        .value_kind:     global_buffer
      - .actual_access:  read_only
        .address_space:  global
        .offset:         32
        .size:           8
        .value_kind:     global_buffer
      - .offset:         40
        .size:           8
        .value_kind:     by_value
      - .address_space:  global
        .offset:         48
        .size:           8
        .value_kind:     global_buffer
      - .address_space:  global
        .offset:         56
        .size:           8
        .value_kind:     global_buffer
      - .address_space:  global
        .offset:         64
        .size:           8
        .value_kind:     global_buffer
      - .address_space:  global
        .offset:         72
        .size:           8
        .value_kind:     global_buffer
      - .offset:         80
        .size:           4
        .value_kind:     by_value
      - .address_space:  global
        .offset:         88
        .size:           8
        .value_kind:     global_buffer
      - .address_space:  global
        .offset:         96
        .size:           8
        .value_kind:     global_buffer
    .group_segment_fixed_size: 1872
    .kernarg_segment_align: 8
    .kernarg_segment_size: 104
    .language:       OpenCL C
    .language_version:
      - 2
      - 0
    .max_flat_workgroup_size: 52
    .name:           bluestein_single_back_len117_dim1_half_op_CI_CI
    .private_segment_fixed_size: 0
    .sgpr_count:     36
    .sgpr_spill_count: 0
    .symbol:         bluestein_single_back_len117_dim1_half_op_CI_CI.kd
    .uniform_work_group_size: 1
    .uses_dynamic_stack: false
    .vgpr_count:     124
    .vgpr_spill_count: 0
    .wavefront_size: 64
amdhsa.target:   amdgcn-amd-amdhsa--gfx906
amdhsa.version:
  - 1
  - 2
...

	.end_amdgpu_metadata
